;; amdgpu-corpus repo=ROCm/rocFFT kind=compiled arch=gfx1201 opt=O3
	.text
	.amdgcn_target "amdgcn-amd-amdhsa--gfx1201"
	.amdhsa_code_object_version 6
	.protected	bluestein_single_back_len1540_dim1_dp_op_CI_CI ; -- Begin function bluestein_single_back_len1540_dim1_dp_op_CI_CI
	.globl	bluestein_single_back_len1540_dim1_dp_op_CI_CI
	.p2align	8
	.type	bluestein_single_back_len1540_dim1_dp_op_CI_CI,@function
bluestein_single_back_len1540_dim1_dp_op_CI_CI: ; @bluestein_single_back_len1540_dim1_dp_op_CI_CI
; %bb.0:
	s_load_b128 s[8:11], s[0:1], 0x28
	v_mul_u32_u24_e32 v1, 0x1aa, v0
	s_mov_b32 s2, exec_lo
	v_mov_b32_e32 v165, 0
	s_delay_alu instid0(VALU_DEP_2) | instskip(NEXT) | instid1(VALU_DEP_1)
	v_lshrrev_b32_e32 v1, 16, v1
	v_add_nc_u32_e32 v164, ttmp9, v1
	s_wait_kmcnt 0x0
	s_delay_alu instid0(VALU_DEP_1)
	v_cmpx_gt_u64_e64 s[8:9], v[164:165]
	s_cbranch_execz .LBB0_23
; %bb.1:
	s_clause 0x1
	s_load_b64 s[12:13], s[0:1], 0x0
	s_load_b64 s[8:9], s[0:1], 0x38
	v_mul_lo_u16 v1, 0x9a, v1
	s_delay_alu instid0(VALU_DEP_1) | instskip(NEXT) | instid1(VALU_DEP_1)
	v_sub_nc_u16 v0, v0, v1
	v_and_b32_e32 v226, 0xffff, v0
	v_cmp_gt_u16_e32 vcc_lo, 0x8c, v0
	s_delay_alu instid0(VALU_DEP_2)
	v_lshlrev_b32_e32 v225, 4, v226
	s_and_saveexec_b32 s3, vcc_lo
	s_cbranch_execz .LBB0_3
; %bb.2:
	s_load_b64 s[4:5], s[0:1], 0x18
	s_wait_kmcnt 0x0
	s_load_b128 s[4:7], s[4:5], 0x0
	s_wait_kmcnt 0x0
	v_mad_co_u64_u32 v[8:9], null, s4, v226, 0
	v_mad_co_u64_u32 v[0:1], null, s6, v164, 0
	s_delay_alu instid0(VALU_DEP_2) | instskip(NEXT) | instid1(VALU_DEP_1)
	v_mov_b32_e32 v2, v9
	v_mad_co_u64_u32 v[3:4], null, s7, v164, v[1:2]
	s_delay_alu instid0(VALU_DEP_1) | instskip(SKIP_2) | instid1(VALU_DEP_2)
	v_mov_b32_e32 v1, v3
	v_mad_co_u64_u32 v[4:5], null, s5, v226, v[2:3]
	s_mul_u64 s[4:5], s[4:5], 0x8c0
	v_lshlrev_b64_e32 v[10:11], 4, v[0:1]
	s_delay_alu instid0(VALU_DEP_2) | instskip(SKIP_4) | instid1(VALU_DEP_1)
	v_mov_b32_e32 v9, v4
	s_clause 0x1
	global_load_b128 v[0:3], v225, s[12:13]
	global_load_b128 v[4:7], v225, s[12:13] offset:2240
	v_add_co_u32 v18, s2, s10, v10
	v_add_co_ci_u32_e64 v19, s2, s11, v11, s2
	v_lshlrev_b64_e32 v[16:17], 4, v[8:9]
	s_clause 0x1
	global_load_b128 v[8:11], v225, s[12:13] offset:4480
	global_load_b128 v[12:15], v225, s[12:13] offset:6720
	v_add_co_u32 v32, s2, v18, v16
	s_wait_alu 0xf1ff
	v_add_co_ci_u32_e64 v33, s2, v19, v17, s2
	s_clause 0x1
	global_load_b128 v[16:19], v225, s[12:13] offset:8960
	global_load_b128 v[20:23], v225, s[12:13] offset:11200
	s_wait_alu 0xfffe
	v_add_co_u32 v36, s2, v32, s4
	s_wait_alu 0xf1ff
	v_add_co_ci_u32_e64 v37, s2, s5, v33, s2
	s_clause 0x1
	global_load_b128 v[24:27], v225, s[12:13] offset:13440
	global_load_b128 v[28:31], v225, s[12:13] offset:15680
	v_add_co_u32 v40, s2, v36, s4
	s_wait_alu 0xf1ff
	v_add_co_ci_u32_e64 v41, s2, s5, v37, s2
	s_clause 0x1
	global_load_b128 v[32:35], v[32:33], off
	global_load_b128 v[36:39], v[36:37], off
	v_add_co_u32 v44, s2, v40, s4
	s_wait_alu 0xf1ff
	v_add_co_ci_u32_e64 v45, s2, s5, v41, s2
	s_delay_alu instid0(VALU_DEP_2) | instskip(SKIP_1) | instid1(VALU_DEP_2)
	v_add_co_u32 v48, s2, v44, s4
	s_wait_alu 0xf1ff
	v_add_co_ci_u32_e64 v49, s2, s5, v45, s2
	s_clause 0x1
	global_load_b128 v[40:43], v[40:41], off
	global_load_b128 v[44:47], v[44:45], off
	v_add_co_u32 v52, s2, v48, s4
	s_wait_alu 0xf1ff
	v_add_co_ci_u32_e64 v53, s2, s5, v49, s2
	global_load_b128 v[48:51], v[48:49], off
	v_add_co_u32 v56, s2, v52, s4
	s_wait_alu 0xf1ff
	v_add_co_ci_u32_e64 v57, s2, s5, v53, s2
	;; [unrolled: 4-line block ×6, first 2 shown]
	s_clause 0x1
	global_load_b128 v[68:71], v225, s[12:13] offset:17920
	global_load_b128 v[72:75], v225, s[12:13] offset:20160
	global_load_b128 v[76:79], v[76:77], off
	global_load_b128 v[80:83], v225, s[12:13] offset:22400
	global_load_b128 v[84:87], v[84:85], off
	s_wait_loadcnt 0xd
	v_mul_f64_e32 v[88:89], v[34:35], v[2:3]
	v_mul_f64_e32 v[2:3], v[32:33], v[2:3]
	s_wait_loadcnt 0xc
	v_mul_f64_e32 v[90:91], v[38:39], v[6:7]
	v_mul_f64_e32 v[6:7], v[36:37], v[6:7]
	;; [unrolled: 3-line block ×11, first 2 shown]
	v_fma_f64 v[30:31], v[32:33], v[0:1], v[88:89]
	v_fma_f64 v[32:33], v[34:35], v[0:1], -v[2:3]
	v_fma_f64 v[0:1], v[36:37], v[4:5], v[90:91]
	v_fma_f64 v[2:3], v[38:39], v[4:5], -v[6:7]
	;; [unrolled: 2-line block ×11, first 2 shown]
	ds_store_b128 v225, v[30:33]
	ds_store_b128 v225, v[0:3] offset:2240
	ds_store_b128 v225, v[4:7] offset:4480
	;; [unrolled: 1-line block ×10, first 2 shown]
.LBB0_3:
	s_or_b32 exec_lo, exec_lo, s3
	s_clause 0x1
	s_load_b64 s[4:5], s[0:1], 0x20
	s_load_b64 s[2:3], s[0:1], 0x8
	global_wb scope:SCOPE_SE
	s_wait_dscnt 0x0
	s_wait_kmcnt 0x0
	s_barrier_signal -1
	s_barrier_wait -1
	global_inv scope:SCOPE_SE
                                        ; implicit-def: $vgpr4_vgpr5
                                        ; implicit-def: $vgpr32_vgpr33
                                        ; implicit-def: $vgpr36_vgpr37
                                        ; implicit-def: $vgpr40_vgpr41
                                        ; implicit-def: $vgpr28_vgpr29
                                        ; implicit-def: $vgpr24_vgpr25
                                        ; implicit-def: $vgpr20_vgpr21
                                        ; implicit-def: $vgpr16_vgpr17
                                        ; implicit-def: $vgpr12_vgpr13
                                        ; implicit-def: $vgpr8_vgpr9
                                        ; implicit-def: $vgpr0_vgpr1
	s_and_saveexec_b32 s0, vcc_lo
	s_cbranch_execz .LBB0_5
; %bb.4:
	ds_load_b128 v[4:7], v225
	ds_load_b128 v[32:35], v225 offset:2240
	ds_load_b128 v[36:39], v225 offset:4480
	ds_load_b128 v[40:43], v225 offset:6720
	ds_load_b128 v[28:31], v225 offset:8960
	ds_load_b128 v[24:27], v225 offset:11200
	ds_load_b128 v[20:23], v225 offset:13440
	ds_load_b128 v[16:19], v225 offset:15680
	ds_load_b128 v[12:15], v225 offset:17920
	ds_load_b128 v[8:11], v225 offset:20160
	ds_load_b128 v[0:3], v225 offset:22400
.LBB0_5:
	s_wait_alu 0xfffe
	s_or_b32 exec_lo, exec_lo, s0
	s_wait_dscnt 0x0
	v_add_f64_e64 v[88:89], v[34:35], -v[2:3]
	v_add_f64_e64 v[62:63], v[32:33], -v[0:1]
	s_mov_b32 s0, 0xf8bb580b
	s_mov_b32 s1, 0xbfe14ced
	v_add_f64_e32 v[60:61], v[32:33], v[0:1]
	v_add_f64_e32 v[92:93], v[34:35], v[2:3]
	v_add_f64_e64 v[90:91], v[38:39], -v[10:11]
	v_add_f64_e64 v[66:67], v[36:37], -v[8:9]
	s_mov_b32 s6, 0x8764f0ba
	s_mov_b32 s10, 0x8eee2c13
	s_mov_b32 s7, 0x3feaeb8c
	s_mov_b32 s11, 0xbfed1bb4
	v_add_f64_e32 v[64:65], v[36:37], v[8:9]
	v_add_f64_e32 v[94:95], v[38:39], v[10:11]
	v_add_f64_e64 v[96:97], v[42:43], -v[14:15]
	v_add_f64_e64 v[56:57], v[40:41], -v[12:13]
	s_mov_b32 s14, 0xd9c712b6
	s_mov_b32 s16, 0x43842ef
	;; [unrolled: 8-line block ×3, first 2 shown]
	s_mov_b32 s21, 0xbfc2375f
	s_mov_b32 s19, 0xbfe82f19
	v_add_f64_e32 v[50:51], v[28:29], v[16:17]
	v_add_f64_e32 v[102:103], v[30:31], v[18:19]
	v_add_f64_e64 v[104:105], v[26:27], -v[22:23]
	s_mov_b32 s22, 0x7f775887
	s_mov_b32 s24, 0xfd768dbf
	;; [unrolled: 1-line block ×4, first 2 shown]
	v_add_f64_e32 v[106:107], v[26:27], v[22:23]
	s_mov_b32 s26, 0x9bcd5057
	s_mov_b32 s27, 0xbfeeb42a
	s_wait_alu 0xfffe
	v_mul_f64_e32 v[76:77], s[0:1], v[88:89]
	v_mul_f64_e32 v[82:83], s[0:1], v[62:63]
	v_mul_lo_u16 v228, v226, 11
	global_wb scope:SCOPE_SE
	s_barrier_signal -1
	s_barrier_wait -1
	v_mul_f64_e32 v[84:85], s[10:11], v[90:91]
	v_mul_f64_e32 v[86:87], s[10:11], v[66:67]
	global_inv scope:SCOPE_SE
	v_mul_f64_e32 v[78:79], s[16:17], v[96:97]
	v_mul_f64_e32 v[80:81], s[16:17], v[56:57]
	;; [unrolled: 1-line block ×4, first 2 shown]
	v_fma_f64 v[44:45], v[60:61], s[6:7], v[76:77]
	v_fma_f64 v[46:47], v[92:93], s[6:7], -v[82:83]
	v_fma_f64 v[52:53], v[64:65], s[14:15], v[84:85]
	v_fma_f64 v[58:59], v[94:95], s[14:15], -v[86:87]
	;; [unrolled: 2-line block ×3, first 2 shown]
	v_fma_f64 v[114:115], v[102:103], s[22:23], -v[74:75]
	v_fma_f64 v[112:113], v[50:51], s[22:23], v[72:73]
	v_add_f64_e32 v[68:69], v[4:5], v[44:45]
	v_add_f64_e32 v[46:47], v[6:7], v[46:47]
	v_add_f64_e64 v[44:45], v[24:25], -v[20:21]
	s_delay_alu instid0(VALU_DEP_3) | instskip(NEXT) | instid1(VALU_DEP_3)
	v_add_f64_e32 v[68:69], v[52:53], v[68:69]
	v_add_f64_e32 v[110:111], v[58:59], v[46:47]
	v_add_f64_e32 v[46:47], v[24:25], v[20:21]
	v_mul_f64_e32 v[52:53], s[24:25], v[104:105]
	v_mul_f64_e32 v[58:59], s[24:25], v[44:45]
	v_add_f64_e32 v[68:69], v[70:71], v[68:69]
	v_add_f64_e32 v[70:71], v[108:109], v[110:111]
	s_delay_alu instid0(VALU_DEP_4) | instskip(NEXT) | instid1(VALU_DEP_4)
	v_fma_f64 v[108:109], v[46:47], s[26:27], v[52:53]
	v_fma_f64 v[110:111], v[106:107], s[26:27], -v[58:59]
	s_delay_alu instid0(VALU_DEP_4) | instskip(NEXT) | instid1(VALU_DEP_4)
	v_add_f64_e32 v[68:69], v[112:113], v[68:69]
	v_add_f64_e32 v[70:71], v[114:115], v[70:71]
	s_delay_alu instid0(VALU_DEP_2) | instskip(NEXT) | instid1(VALU_DEP_2)
	v_add_f64_e32 v[68:69], v[108:109], v[68:69]
	v_add_f64_e32 v[70:71], v[110:111], v[70:71]
	s_and_saveexec_b32 s33, vcc_lo
	s_cbranch_execz .LBB0_7
; %bb.6:
	v_add_f64_e32 v[34:35], v[6:7], v[34:35]
	v_add_f64_e32 v[32:33], v[4:5], v[32:33]
	v_mul_f64_e32 v[128:129], s[26:27], v[92:93]
	v_mul_f64_e32 v[134:135], s[24:25], v[88:89]
	;; [unrolled: 1-line block ×7, first 2 shown]
	s_mov_b32 s31, 0x3fefac9e
	s_mov_b32 s30, s16
	;; [unrolled: 1-line block ×8, first 2 shown]
	v_mul_f64_e32 v[108:109], s[14:15], v[64:65]
	v_mul_f64_e32 v[110:111], s[14:15], v[94:95]
	;; [unrolled: 1-line block ×10, first 2 shown]
	s_mov_b32 s37, 0x3fed1bb4
	s_mov_b32 s36, s10
	v_mul_f64_e32 v[112:113], s[20:21], v[54:55]
	v_mul_f64_e32 v[124:125], s[22:23], v[98:99]
	;; [unrolled: 1-line block ×9, first 2 shown]
	v_add_f64_e32 v[34:35], v[34:35], v[38:39]
	v_add_f64_e32 v[32:33], v[32:33], v[36:37]
	v_mul_f64_e32 v[38:39], s[6:7], v[92:93]
	v_mul_f64_e32 v[92:93], s[14:15], v[92:93]
	;; [unrolled: 1-line block ×3, first 2 shown]
	v_fma_f64 v[177:178], v[62:63], s[38:39], v[128:129]
	v_fma_f64 v[179:180], v[60:61], s[26:27], v[134:135]
	v_fma_f64 v[134:135], v[60:61], s[26:27], -v[134:135]
	v_fma_f64 v[181:182], v[62:63], s[28:29], v[136:137]
	v_fma_f64 v[183:184], v[60:61], s[22:23], v[138:139]
	;; [unrolled: 1-line block ×3, first 2 shown]
	v_fma_f64 v[189:190], v[60:61], s[14:15], -v[146:147]
	v_fma_f64 v[128:129], v[62:63], s[24:25], v[128:129]
	v_fma_f64 v[191:192], v[60:61], s[20:21], -v[88:89]
	v_fma_f64 v[136:137], v[62:63], s[18:19], v[136:137]
	;; [unrolled: 2-line block ×3, first 2 shown]
	v_fma_f64 v[88:89], v[60:61], s[20:21], v[88:89]
	v_fma_f64 v[60:61], v[60:61], s[14:15], v[146:147]
	v_add_f64_e32 v[86:87], v[86:87], v[110:111]
	v_add_f64_e64 v[84:85], v[108:109], -v[84:85]
	v_mul_f64_e32 v[142:143], s[26:27], v[102:103]
	v_fma_f64 v[146:147], v[66:67], s[28:29], v[94:95]
	v_mul_f64_e32 v[152:153], s[24:25], v[100:101]
	v_fma_f64 v[108:109], v[64:65], s[6:7], v[169:170]
	v_fma_f64 v[110:111], v[64:65], s[6:7], -v[169:170]
	v_fma_f64 v[169:170], v[64:65], s[26:27], v[90:91]
	v_mul_f64_e32 v[162:163], s[0:1], v[100:101]
	v_mul_f64_e32 v[167:168], s[36:37], v[100:101]
	;; [unrolled: 1-line block ×3, first 2 shown]
	v_add_f64_e64 v[78:79], v[112:113], -v[78:79]
	v_mul_f64_e32 v[118:119], s[26:27], v[106:107]
	v_mul_f64_e32 v[120:121], s[20:21], v[106:107]
	;; [unrolled: 1-line block ×4, first 2 shown]
	v_fma_f64 v[112:113], v[54:55], s[26:27], v[96:97]
	v_mul_f64_e32 v[156:157], s[22:23], v[106:107]
	v_mul_f64_e32 v[160:161], s[18:19], v[104:105]
	v_add_f64_e32 v[34:35], v[34:35], v[42:43]
	v_add_f64_e32 v[32:33], v[32:33], v[40:41]
	;; [unrolled: 1-line block ×3, first 2 shown]
	v_fma_f64 v[187:188], v[62:63], s[10:11], v[92:93]
	v_fma_f64 v[62:63], v[62:63], s[36:37], v[92:93]
	v_mul_f64_e32 v[40:41], s[20:21], v[98:99]
	v_fma_f64 v[82:83], v[66:67], s[30:31], v[150:151]
	v_fma_f64 v[92:93], v[66:67], s[24:25], v[158:159]
	v_add_f64_e32 v[134:135], v[4:5], v[134:135]
	v_mul_f64_e32 v[42:43], s[22:23], v[50:51]
	v_mul_f64_e32 v[106:107], s[6:7], v[106:107]
	;; [unrolled: 1-line block ×3, first 2 shown]
	v_add_f64_e32 v[128:129], v[6:7], v[128:129]
	v_mul_f64_e32 v[104:105], s[34:35], v[104:105]
	v_add_f64_e32 v[136:137], v[6:7], v[136:137]
	v_add_f64_e32 v[138:139], v[4:5], v[138:139]
	v_add_f64_e32 v[144:145], v[6:7], v[144:145]
	v_add_f64_e32 v[88:89], v[4:5], v[88:89]
	v_add_f64_e32 v[60:61], v[4:5], v[60:61]
	v_add_f64_e32 v[74:75], v[74:75], v[114:115]
	v_mul_f64_e32 v[116:117], s[26:27], v[46:47]
	v_fma_f64 v[114:115], v[50:51], s[20:21], v[100:101]
	v_add_f64_e32 v[58:59], v[58:59], v[118:119]
	v_add_f64_e32 v[30:31], v[34:35], v[30:31]
	;; [unrolled: 1-line block ×3, first 2 shown]
	v_mul_f64_e32 v[34:35], s[14:15], v[98:99]
	v_mul_f64_e32 v[98:99], s[26:27], v[98:99]
	v_add_f64_e32 v[62:63], v[6:7], v[62:63]
	v_mul_f64_e32 v[32:33], s[6:7], v[102:103]
	v_mul_f64_e32 v[102:103], s[20:21], v[102:103]
	v_add_f64_e32 v[40:41], v[80:81], v[40:41]
	v_fma_f64 v[80:81], v[54:55], s[14:15], v[175:176]
	v_add_f64_e64 v[42:43], v[42:43], -v[72:73]
	v_fma_f64 v[72:73], v[50:51], s[14:15], v[167:168]
	v_add_f64_e32 v[82:83], v[82:83], v[136:137]
	v_fma_f64 v[136:137], v[50:51], s[6:7], v[162:163]
	v_add_f64_e32 v[92:93], v[92:93], v[144:145]
	v_add_f64_e32 v[88:89], v[169:170], v[88:89]
	v_add_f64_e64 v[52:53], v[116:117], -v[52:53]
	v_add_f64_e32 v[26:27], v[30:31], v[26:27]
	v_add_f64_e32 v[24:25], v[28:29], v[24:25]
	v_add_f64_e64 v[28:29], v[36:37], -v[76:77]
	v_fma_f64 v[30:31], v[66:67], s[0:1], v[126:127]
	v_fma_f64 v[36:37], v[66:67], s[34:35], v[126:127]
	;; [unrolled: 1-line block ×6, first 2 shown]
	v_fma_f64 v[94:95], v[64:65], s[22:23], -v[165:166]
	v_fma_f64 v[158:159], v[64:65], s[20:21], v[173:174]
	v_fma_f64 v[165:166], v[64:65], s[20:21], -v[173:174]
	v_fma_f64 v[64:65], v[64:65], s[26:27], -v[90:91]
	v_add_f64_e32 v[90:91], v[6:7], v[177:178]
	v_add_f64_e32 v[173:174], v[4:5], v[179:180]
	;; [unrolled: 1-line block ×9, first 2 shown]
	v_fma_f64 v[38:39], v[54:55], s[22:23], -v[132:133]
	v_fma_f64 v[189:190], v[56:57], s[10:11], v[34:35]
	v_fma_f64 v[34:35], v[56:57], s[36:37], v[34:35]
	v_fma_f64 v[191:192], v[56:57], s[24:25], v[98:99]
	v_add_f64_e32 v[62:63], v[146:147], v[62:63]
	v_add_f64_e32 v[80:81], v[80:81], v[88:89]
	v_fma_f64 v[88:89], v[44:45], s[10:11], v[140:141]
	v_add_f64_e32 v[22:23], v[26:27], v[22:23]
	v_add_f64_e32 v[20:21], v[24:25], v[20:21]
	;; [unrolled: 1-line block ×3, first 2 shown]
	v_fma_f64 v[24:25], v[56:57], s[28:29], v[124:125]
	v_fma_f64 v[26:27], v[54:55], s[22:23], v[132:133]
	;; [unrolled: 1-line block ×6, first 2 shown]
	v_fma_f64 v[154:155], v[54:55], s[6:7], -v[154:155]
	v_fma_f64 v[56:57], v[56:57], s[38:39], v[98:99]
	v_fma_f64 v[98:99], v[54:55], s[14:15], -v[175:176]
	v_fma_f64 v[54:55], v[54:55], s[26:27], -v[96:97]
	v_add_f64_e32 v[30:31], v[30:31], v[90:91]
	v_add_f64_e32 v[90:91], v[108:109], v[173:174]
	;; [unrolled: 1-line block ×13, first 2 shown]
	v_fma_f64 v[86:87], v[50:51], s[26:27], v[152:153]
	v_fma_f64 v[128:129], v[50:51], s[26:27], -v[152:153]
	v_fma_f64 v[134:135], v[48:49], s[34:35], v[32:33]
	v_fma_f64 v[32:33], v[48:49], s[0:1], v[32:33]
	v_fma_f64 v[138:139], v[50:51], s[6:7], -v[162:163]
	v_add_f64_e32 v[62:63], v[191:192], v[62:63]
	v_add_f64_e32 v[18:19], v[22:23], v[18:19]
	;; [unrolled: 1-line block ×4, first 2 shown]
	v_fma_f64 v[20:21], v[48:49], s[10:11], v[122:123]
	v_fma_f64 v[22:23], v[48:49], s[36:37], v[122:123]
	;; [unrolled: 1-line block ×6, first 2 shown]
	v_fma_f64 v[102:103], v[50:51], s[14:15], -v[167:168]
	v_fma_f64 v[50:51], v[50:51], s[20:21], -v[100:101]
	v_fma_f64 v[100:101], v[44:45], s[0:1], v[106:107]
	v_add_f64_e32 v[24:25], v[24:25], v[30:31]
	v_add_f64_e32 v[26:27], v[26:27], v[90:91]
	;; [unrolled: 1-line block ×15, first 2 shown]
	v_fma_f64 v[40:41], v[44:45], s[16:17], v[120:121]
	v_fma_f64 v[90:91], v[44:45], s[36:37], v[140:141]
	;; [unrolled: 1-line block ×5, first 2 shown]
	v_fma_f64 v[98:99], v[46:47], s[22:23], -v[160:161]
	v_fma_f64 v[108:109], v[46:47], s[14:15], -v[171:172]
	v_fma_f64 v[110:111], v[46:47], s[6:7], v[104:105]
	v_add_f64_e32 v[14:15], v[18:19], v[14:15]
	v_add_f64_e32 v[12:13], v[16:17], v[12:13]
	v_add_f64_e32 v[4:5], v[78:79], v[4:5]
	v_fma_f64 v[16:17], v[44:45], s[30:31], v[120:121]
	v_fma_f64 v[18:19], v[46:47], s[20:21], v[130:131]
	v_fma_f64 v[78:79], v[46:47], s[20:21], -v[130:131]
	v_fma_f64 v[44:45], v[44:45], s[34:35], v[106:107]
	v_fma_f64 v[106:107], v[46:47], s[14:15], v[171:172]
	v_fma_f64 v[46:47], v[46:47], s[6:7], -v[104:105]
	v_add_f64_e32 v[62:63], v[142:143], v[62:63]
	v_add_f64_e32 v[20:21], v[20:21], v[24:25]
	;; [unrolled: 1-line block ×37, first 2 shown]
	v_and_b32_e32 v40, 0xffff, v228
	s_delay_alu instid0(VALU_DEP_1)
	v_lshlrev_b32_e32 v40, 4, v40
	v_add_f64_e32 v[2:3], v[66:67], v[2:3]
	v_add_f64_e32 v[0:1], v[72:73], v[0:1]
	;; [unrolled: 1-line block ×3, first 2 shown]
	ds_store_b128 v40, v[24:27] offset:32
	ds_store_b128 v40, v[20:23] offset:48
	;; [unrolled: 1-line block ×8, first 2 shown]
	ds_store_b128 v40, v[0:3]
	ds_store_b128 v40, v[36:39] offset:16
	ds_store_b128 v40, v[68:71] offset:160
.LBB0_7:
	s_or_b32 exec_lo, exec_lo, s33
	v_and_b32_e32 v0, 0xff, v226
	v_add_co_u32 v3, null, 0x134, v226
	v_add_co_u32 v4, null, 0x1ce, v226
	s_delay_alu instid0(VALU_DEP_3) | instskip(SKIP_1) | instid1(VALU_DEP_4)
	v_mul_lo_u16 v0, 0x75, v0
	v_add_co_u32 v6, null, 0x268, v226
	v_and_b32_e32 v7, 0xffff, v3
	s_delay_alu instid0(VALU_DEP_4) | instskip(NEXT) | instid1(VALU_DEP_4)
	v_and_b32_e32 v8, 0xffff, v4
	v_lshrrev_b16 v1, 8, v0
	v_add_nc_u16 v0, v226, 0x9a
	s_load_b128 s[4:7], s[4:5], 0x0
	v_mul_u32_u24_e32 v7, 0xba2f, v7
	global_wb scope:SCOPE_SE
	s_wait_dscnt 0x0
	v_sub_nc_u16 v2, v226, v1
	v_and_b32_e32 v5, 0xffff, v0
	s_wait_kmcnt 0x0
	s_barrier_signal -1
	v_lshrrev_b32_e32 v76, 19, v7
	s_barrier_wait -1
	v_lshrrev_b16 v2, 1, v2
	global_inv scope:SCOPE_SE
	v_cmp_gt_u16_e64 s0, 0x42, v226
                                        ; implicit-def: $vgpr112_vgpr113
                                        ; implicit-def: $vgpr116_vgpr117
                                        ; implicit-def: $vgpr120_vgpr121
	v_and_b32_e32 v2, 0x7f, v2
	s_delay_alu instid0(VALU_DEP_1) | instskip(SKIP_2) | instid1(VALU_DEP_3)
	v_add_nc_u16 v2, v2, v1
	v_mul_u32_u24_e32 v1, 0xba2f, v5
	v_and_b32_e32 v5, 0xffff, v6
	v_lshrrev_b16 v66, 3, v2
	v_mul_u32_u24_e32 v2, 0xba2f, v8
	s_delay_alu instid0(VALU_DEP_4) | instskip(NEXT) | instid1(VALU_DEP_4)
	v_lshrrev_b32_e32 v67, 19, v1
	v_mul_u32_u24_e32 v5, 0xba2f, v5
	s_delay_alu instid0(VALU_DEP_4) | instskip(NEXT) | instid1(VALU_DEP_4)
	v_mul_lo_u16 v7, v66, 11
	v_lshrrev_b32_e32 v77, 19, v2
	s_delay_alu instid0(VALU_DEP_4) | instskip(NEXT) | instid1(VALU_DEP_4)
	v_mul_lo_u16 v2, v67, 11
	v_lshrrev_b32_e32 v78, 19, v5
	v_mul_lo_u16 v5, v76, 11
	v_sub_nc_u16 v7, v226, v7
	v_mul_lo_u16 v8, v77, 11
	v_sub_nc_u16 v79, v0, v2
	;; [unrolled: 2-line block ×3, first 2 shown]
	v_and_b32_e32 v89, 0xff, v7
	v_sub_nc_u16 v90, v4, v8
	v_and_b32_e32 v3, 0xffff, v79
	v_sub_nc_u16 v91, v6, v2
	v_and_b32_e32 v2, 0xffff, v88
	v_lshlrev_b32_e32 v4, 4, v89
	v_and_b32_e32 v5, 0xffff, v90
	v_lshlrev_b32_e32 v3, 4, v3
	;; [unrolled: 2-line block ×3, first 2 shown]
	s_clause 0x1
	global_load_b128 v[32:35], v4, s[2:3]
	global_load_b128 v[36:39], v3, s[2:3]
	v_lshlrev_b32_e32 v4, 4, v5
	v_lshlrev_b32_e32 v3, 4, v6
	s_clause 0x2
	global_load_b128 v[40:43], v2, s[2:3]
	global_load_b128 v[28:31], v4, s[2:3]
	;; [unrolled: 1-line block ×3, first 2 shown]
	v_and_b32_e32 v2, 0xffff, v226
	s_delay_alu instid0(VALU_DEP_1)
	v_lshlrev_b32_e32 v227, 4, v2
	ds_load_b128 v[2:5], v227 offset:12320
	ds_load_b128 v[6:9], v227 offset:14784
	;; [unrolled: 1-line block ×6, first 2 shown]
	s_wait_loadcnt_dscnt 0x405
	v_mul_f64_e32 v[22:23], v[4:5], v[34:35]
	v_mul_f64_e32 v[48:49], v[2:3], v[34:35]
	s_wait_loadcnt_dscnt 0x304
	v_mul_f64_e32 v[50:51], v[8:9], v[38:39]
	v_mul_f64_e32 v[52:53], v[6:7], v[38:39]
	;; [unrolled: 3-line block ×5, first 2 shown]
	v_fma_f64 v[22:23], v[2:3], v[32:33], -v[22:23]
	v_fma_f64 v[48:49], v[4:5], v[32:33], v[48:49]
	v_fma_f64 v[50:51], v[6:7], v[36:37], -v[50:51]
	v_fma_f64 v[52:53], v[8:9], v[36:37], v[52:53]
	;; [unrolled: 2-line block ×5, first 2 shown]
	ds_load_b128 v[2:5], v227
	ds_load_b128 v[6:9], v227 offset:2464
	ds_load_b128 v[10:13], v227 offset:4928
	ds_load_b128 v[14:17], v227 offset:7392
	global_wb scope:SCOPE_SE
	s_wait_dscnt 0x0
	s_barrier_signal -1
	s_barrier_wait -1
	global_inv scope:SCOPE_SE
	v_add_f64_e64 v[18:19], v[2:3], -v[22:23]
	v_add_f64_e64 v[20:21], v[4:5], -v[48:49]
	;; [unrolled: 1-line block ×4, first 2 shown]
	v_mad_u16 v22, v67, 22, v79
	v_add_f64_e64 v[52:53], v[10:11], -v[54:55]
	v_add_f64_e64 v[54:55], v[12:13], -v[56:57]
	;; [unrolled: 1-line block ×6, first 2 shown]
	v_mad_u16 v23, v76, 22, v88
	v_and_b32_e32 v22, 0xffff, v22
	s_delay_alu instid0(VALU_DEP_2) | instskip(NEXT) | instid1(VALU_DEP_2)
	v_and_b32_e32 v23, 0xffff, v23
	v_lshlrev_b32_e32 v234, 4, v22
	s_delay_alu instid0(VALU_DEP_2)
	v_lshlrev_b32_e32 v233, 4, v23
	v_fma_f64 v[2:3], v[2:3], 2.0, -v[18:19]
	v_fma_f64 v[4:5], v[4:5], 2.0, -v[20:21]
	;; [unrolled: 1-line block ×10, first 2 shown]
	v_and_b32_e32 v46, 0xffff, v66
	v_mad_u16 v44, v77, 22, v90
	v_mad_u16 v45, v78, 22, v91
	s_delay_alu instid0(VALU_DEP_3) | instskip(NEXT) | instid1(VALU_DEP_3)
	v_mul_u32_u24_e32 v46, 22, v46
	v_and_b32_e32 v44, 0xffff, v44
	s_delay_alu instid0(VALU_DEP_3) | instskip(NEXT) | instid1(VALU_DEP_3)
	v_and_b32_e32 v45, 0xffff, v45
	v_add_lshl_u32 v235, v46, v89, 4
	s_delay_alu instid0(VALU_DEP_3) | instskip(NEXT) | instid1(VALU_DEP_3)
	v_lshlrev_b32_e32 v232, 4, v44
	v_lshlrev_b32_e32 v231, 4, v45
	ds_store_b128 v235, v[2:5]
	ds_store_b128 v235, v[18:21] offset:176
	ds_store_b128 v234, v[6:9]
	ds_store_b128 v234, v[48:51] offset:176
	;; [unrolled: 2-line block ×5, first 2 shown]
	global_wb scope:SCOPE_SE
	s_wait_dscnt 0x0
	s_barrier_signal -1
	s_barrier_wait -1
	global_inv scope:SCOPE_SE
	ds_load_b128 v[76:79], v227
	ds_load_b128 v[104:107], v227 offset:3520
	ds_load_b128 v[100:103], v227 offset:7040
	;; [unrolled: 1-line block ×6, first 2 shown]
	s_and_saveexec_b32 s1, s0
	s_cbranch_execz .LBB0_9
; %bb.8:
	ds_load_b128 v[72:75], v227 offset:2464
	ds_load_b128 v[84:87], v227 offset:5984
	;; [unrolled: 1-line block ×7, first 2 shown]
.LBB0_9:
	s_wait_alu 0xfffe
	s_or_b32 exec_lo, exec_lo, s1
	v_lshrrev_b16 v2, 1, v226
	v_lshrrev_b32_e32 v229, 20, v1
	s_mov_b32 s10, 0x37e14327
	s_mov_b32 s14, 0x36b3c0b5
	;; [unrolled: 1-line block ×3, first 2 shown]
	v_and_b32_e32 v1, 0x7f, v2
	v_mul_lo_u16 v2, v229, 22
	s_mov_b32 s18, 0x429ad128
	s_mov_b32 s11, 0x3fe948f6
	s_mov_b32 s15, 0x3fac98ee
	v_mul_lo_u16 v1, 0xbb, v1
	v_sub_nc_u16 v230, v0, v2
	s_mov_b32 s17, 0xbfe11646
	s_mov_b32 s19, 0x3febfeb5
	;; [unrolled: 1-line block ×3, first 2 shown]
	v_lshrrev_b16 v173, 11, v1
	v_mul_lo_u16 v0, 0x60, v230
	s_mov_b32 s21, 0xbfe77f67
	s_mov_b32 s23, 0x3fd5d0dc
	;; [unrolled: 1-line block ×3, first 2 shown]
	v_mul_lo_u16 v1, v173, 22
	v_and_b32_e32 v0, 0xffff, v0
	s_wait_alu 0xfffe
	s_mov_b32 s24, s22
	s_delay_alu instid0(VALU_DEP_2) | instskip(NEXT) | instid1(VALU_DEP_2)
	v_sub_nc_u16 v1, v226, v1
	v_add_co_u32 v12, s1, s2, v0
	s_wait_alu 0xf1ff
	v_add_co_ci_u32_e64 v13, null, s3, 0, s1
	s_delay_alu instid0(VALU_DEP_3)
	v_and_b32_e32 v174, 0xff, v1
	global_load_b128 v[4:7], v[12:13], off offset:176
	v_mad_co_u64_u32 v[44:45], null, 0x60, v174, s[2:3]
	s_clause 0xa
	global_load_b128 v[0:3], v[12:13], off offset:192
	global_load_b128 v[8:11], v[12:13], off offset:240
	;; [unrolled: 1-line block ×11, first 2 shown]
	global_wb scope:SCOPE_SE
	s_wait_loadcnt_dscnt 0x0
	s_barrier_signal -1
	s_barrier_wait -1
	global_inv scope:SCOPE_SE
	v_mul_f64_e32 v[128:129], v[82:83], v[2:3]
	v_mul_f64_e32 v[130:131], v[80:81], v[2:3]
	v_mul_f64_e32 v[132:133], v[118:119], v[10:11]
	v_mul_f64_e32 v[124:125], v[86:87], v[6:7]
	v_mul_f64_e32 v[126:127], v[84:85], v[6:7]
	v_mul_f64_e32 v[134:135], v[122:123], v[22:23]
	v_mul_f64_e32 v[136:137], v[120:121], v[22:23]
	v_mul_f64_e32 v[138:139], v[116:117], v[10:11]
	v_mul_f64_e32 v[140:141], v[106:107], v[66:67]
	v_mul_f64_e32 v[142:143], v[104:105], v[66:67]
	v_mul_f64_e32 v[144:145], v[102:103], v[62:63]
	v_mul_f64_e32 v[146:147], v[100:101], v[62:63]
	v_mul_f64_e32 v[148:149], v[110:111], v[58:59]
	v_mul_f64_e32 v[150:151], v[108:109], v[58:59]
	v_mul_f64_e32 v[152:153], v[98:99], v[50:51]
	v_mul_f64_e32 v[154:155], v[96:97], v[50:51]
	v_mul_f64_e32 v[156:157], v[70:71], v[18:19]
	v_mul_f64_e32 v[158:159], v[68:69], v[18:19]
	v_mul_f64_e32 v[160:161], v[114:115], v[14:15]
	v_mul_f64_e32 v[162:163], v[112:113], v[14:15]
	v_mul_f64_e32 v[165:166], v[94:95], v[54:55]
	v_mul_f64_e32 v[167:168], v[92:93], v[54:55]
	v_mul_f64_e32 v[169:170], v[90:91], v[46:47]
	v_mul_f64_e32 v[171:172], v[88:89], v[46:47]
	v_fma_f64 v[80:81], v[80:81], v[0:1], -v[128:129]
	v_fma_f64 v[82:83], v[82:83], v[0:1], v[130:131]
	v_fma_f64 v[116:117], v[116:117], v[8:9], -v[132:133]
	v_fma_f64 v[84:85], v[84:85], v[4:5], -v[124:125]
	v_fma_f64 v[86:87], v[86:87], v[4:5], v[126:127]
	v_fma_f64 v[120:121], v[120:121], v[20:21], -v[134:135]
	v_fma_f64 v[122:123], v[122:123], v[20:21], v[136:137]
	v_fma_f64 v[118:119], v[118:119], v[8:9], v[138:139]
	v_fma_f64 v[104:105], v[104:105], v[64:65], -v[140:141]
	v_fma_f64 v[106:107], v[106:107], v[64:65], v[142:143]
	v_fma_f64 v[100:101], v[100:101], v[60:61], -v[144:145]
	;; [unrolled: 2-line block ×8, first 2 shown]
	v_fma_f64 v[90:91], v[90:91], v[44:45], v[171:172]
	v_add_f64_e32 v[128:129], v[80:81], v[116:117]
	v_add_f64_e64 v[80:81], v[80:81], -v[116:117]
	v_add_f64_e32 v[124:125], v[84:85], v[120:121]
	v_add_f64_e32 v[126:127], v[86:87], v[122:123]
	;; [unrolled: 1-line block ×3, first 2 shown]
	v_add_f64_e64 v[84:85], v[84:85], -v[120:121]
	v_add_f64_e64 v[82:83], v[82:83], -v[118:119]
	;; [unrolled: 1-line block ×3, first 2 shown]
	v_add_f64_e32 v[132:133], v[104:105], v[108:109]
	v_add_f64_e32 v[134:135], v[106:107], v[110:111]
	v_add_f64_e32 v[136:137], v[100:101], v[96:97]
	v_add_f64_e32 v[138:139], v[102:103], v[98:99]
	v_add_f64_e64 v[96:97], v[100:101], -v[96:97]
	v_add_f64_e64 v[98:99], v[102:103], -v[98:99]
	v_add_f64_e32 v[120:121], v[68:69], v[112:113]
	v_add_f64_e32 v[116:117], v[70:71], v[114:115]
	v_add_f64_e64 v[70:71], v[114:115], -v[70:71]
	v_add_f64_e64 v[68:69], v[112:113], -v[68:69]
	;; [unrolled: 1-line block ×6, first 2 shown]
	v_add_f64_e32 v[88:89], v[92:93], v[88:89]
	v_add_f64_e32 v[90:91], v[94:95], v[90:91]
	;; [unrolled: 1-line block ×4, first 2 shown]
	v_add_f64_e64 v[142:143], v[80:81], -v[84:85]
	v_add_f64_e64 v[144:145], v[82:83], -v[86:87]
	v_add_f64_e32 v[92:93], v[136:137], v[132:133]
	v_add_f64_e32 v[94:95], v[138:139], v[134:135]
	v_add_f64_e64 v[108:109], v[124:125], -v[120:121]
	v_add_f64_e64 v[110:111], v[120:121], -v[128:129]
	;; [unrolled: 1-line block ×13, first 2 shown]
	v_add_f64_e32 v[80:81], v[68:69], v[80:81]
	v_add_f64_e32 v[82:83], v[70:71], v[82:83]
	v_add_f64_e64 v[128:129], v[84:85], -v[68:69]
	v_add_f64_e32 v[98:99], v[102:103], v[98:99]
	v_add_f64_e64 v[102:103], v[106:107], -v[102:103]
	;; [unrolled: 2-line block ×4, first 2 shown]
	v_add_f64_e64 v[126:127], v[130:131], -v[126:127]
	v_add_f64_e64 v[130:131], v[86:87], -v[70:71]
	v_add_f64_e32 v[96:97], v[100:101], v[96:97]
	v_add_f64_e64 v[100:101], v[104:105], -v[100:101]
	v_mul_f64_e32 v[165:166], s[18:19], v[142:143]
	v_add_f64_e32 v[92:93], v[88:89], v[92:93]
	v_add_f64_e32 v[94:95], v[90:91], v[94:95]
	v_mul_f64_e32 v[167:168], s[18:19], v[144:145]
	v_mul_f64_e32 v[108:109], s[10:11], v[108:109]
	;; [unrolled: 1-line block ×8, first 2 shown]
	s_mov_b32 s16, 0xaaaaaaaa
	v_mul_f64_e32 v[152:153], s[10:11], v[152:153]
	v_mul_f64_e32 v[154:155], s[10:11], v[154:155]
	s_mov_b32 s17, 0xbff2aaaa
	v_add_f64_e32 v[84:85], v[80:81], v[84:85]
	v_add_f64_e32 v[80:81], v[82:83], v[86:87]
	;; [unrolled: 1-line block ×4, first 2 shown]
	v_mul_f64_e32 v[72:73], s[18:19], v[120:121]
	v_add_f64_e32 v[70:71], v[74:75], v[114:115]
	v_mul_f64_e32 v[74:75], s[18:19], v[150:151]
	v_mul_f64_e32 v[116:117], s[10:11], v[116:117]
	s_mov_b32 s10, 0x5476071b
	s_mov_b32 s11, 0x3fe77f67
	s_wait_alu 0xfffe
	s_mov_b32 s20, s10
	v_add_f64_e32 v[82:83], v[96:97], v[104:105]
	v_add_f64_e32 v[88:89], v[76:77], v[92:93]
	;; [unrolled: 1-line block ×3, first 2 shown]
	v_add_f64_e64 v[76:77], v[136:137], -v[132:133]
	v_add_f64_e64 v[78:79], v[138:139], -v[134:135]
	v_mul_f64_e32 v[132:133], s[14:15], v[156:157]
	v_mul_f64_e32 v[134:135], s[14:15], v[158:159]
	v_fma_f64 v[96:97], v[110:111], s[14:15], v[108:109]
	v_fma_f64 v[98:99], v[124:125], s[10:11], -v[160:161]
	v_fma_f64 v[104:105], v[126:127], s[10:11], -v[162:163]
	s_wait_alu 0xfffe
	v_fma_f64 v[106:107], v[124:125], s[20:21], -v[108:109]
	v_fma_f64 v[108:109], v[130:131], s[22:23], v[122:123]
	v_fma_f64 v[110:111], v[142:143], s[18:19], -v[140:141]
	v_fma_f64 v[122:123], v[144:145], s[18:19], -v[122:123]
	v_fma_f64 v[124:125], v[128:129], s[24:25], -v[165:166]
	v_fma_f64 v[130:131], v[130:131], s[24:25], -v[167:168]
	v_fma_f64 v[136:137], v[100:101], s[22:23], v[146:147]
	v_fma_f64 v[138:139], v[102:103], s[22:23], v[148:149]
	v_fma_f64 v[120:121], v[120:121], s[18:19], -v[146:147]
	v_fma_f64 v[142:143], v[150:151], s[18:19], -v[148:149]
	v_fma_f64 v[128:129], v[128:129], s[22:23], v[140:141]
	v_fma_f64 v[144:145], v[156:157], s[14:15], v[152:153]
	;; [unrolled: 1-line block ×4, first 2 shown]
	v_fma_f64 v[100:101], v[100:101], s[24:25], -v[72:73]
	v_fma_f64 v[114:115], v[114:115], s[16:17], v[70:71]
	v_fma_f64 v[102:103], v[102:103], s[24:25], -v[74:75]
	v_fma_f64 v[126:127], v[126:127], s[20:21], -v[116:117]
	v_fma_f64 v[116:117], v[118:119], s[14:15], v[116:117]
	v_fma_f64 v[92:93], v[92:93], s[16:17], v[88:89]
	;; [unrolled: 1-line block ×3, first 2 shown]
	v_fma_f64 v[148:149], v[76:77], s[20:21], -v[152:153]
	v_fma_f64 v[150:151], v[78:79], s[20:21], -v[154:155]
	;; [unrolled: 1-line block ×4, first 2 shown]
	s_mov_b32 s10, 0x37c3f68c
	s_mov_b32 s11, 0x3fdc38aa
	s_wait_alu 0xfffe
	v_fma_f64 v[72:73], v[80:81], s[10:11], v[108:109]
	v_fma_f64 v[108:109], v[84:85], s[10:11], v[110:111]
	;; [unrolled: 1-line block ×10, first 2 shown]
	v_add_f64_e32 v[98:99], v[98:99], v[112:113]
	v_fma_f64 v[138:139], v[82:83], s[10:11], v[100:101]
	v_add_f64_e32 v[104:105], v[104:105], v[114:115]
	v_fma_f64 v[124:125], v[86:87], s[10:11], v[102:103]
	v_add_f64_e32 v[76:77], v[106:107], v[112:113]
	v_add_f64_e32 v[82:83], v[126:127], v[114:115]
	;; [unrolled: 1-line block ×10, first 2 shown]
	v_add_f64_e64 v[116:117], v[98:99], -v[110:111]
	v_add_f64_e32 v[100:101], v[110:111], v[98:99]
	v_add_f64_e32 v[118:119], v[108:109], v[104:105]
	v_add_f64_e64 v[102:103], v[104:105], -v[108:109]
	v_add_f64_e64 v[108:109], v[76:77], -v[74:75]
	v_add_f64_e32 v[110:111], v[78:79], v[82:83]
	v_add_f64_e64 v[112:113], v[80:81], -v[72:73]
	v_add_f64_e32 v[114:115], v[84:85], v[86:87]
	v_add_f64_e32 v[92:93], v[136:137], v[140:141]
	v_add_f64_e64 v[94:95], v[142:143], -v[130:131]
	v_add_f64_e32 v[96:97], v[124:125], v[126:127]
	v_add_f64_e64 v[98:99], v[144:145], -v[138:139]
	v_add_f64_e64 v[104:105], v[132:133], -v[120:121]
	v_add_f64_e32 v[106:107], v[122:123], v[134:135]
	v_add_f64_e32 v[120:121], v[120:121], v[132:133]
	v_add_f64_e64 v[122:123], v[134:135], -v[122:123]
	v_add_f64_e64 v[124:125], v[126:127], -v[124:125]
	v_add_f64_e32 v[126:127], v[138:139], v[144:145]
	v_add_f64_e64 v[128:129], v[140:141], -v[136:137]
	v_add_f64_e32 v[130:131], v[130:131], v[142:143]
	v_and_b32_e32 v132, 0xffff, v173
	s_delay_alu instid0(VALU_DEP_1) | instskip(NEXT) | instid1(VALU_DEP_1)
	v_mul_u32_u24_e32 v132, 0x9a, v132
	v_add_lshl_u32 v236, v132, v174, 4
	ds_store_b128 v236, v[88:91]
	ds_store_b128 v236, v[92:95] offset:352
	ds_store_b128 v236, v[96:99] offset:704
	;; [unrolled: 1-line block ×6, first 2 shown]
	s_and_saveexec_b32 s1, s0
	s_cbranch_execz .LBB0_11
; %bb.10:
	v_add_f64_e64 v[78:79], v[82:83], -v[78:79]
	v_add_f64_e64 v[82:83], v[86:87], -v[84:85]
	v_add_f64_e32 v[80:81], v[72:73], v[80:81]
	v_add_f64_e32 v[76:77], v[74:75], v[76:77]
	v_mad_u16 v72, 0x9a, v229, v230
	s_delay_alu instid0(VALU_DEP_1) | instskip(NEXT) | instid1(VALU_DEP_1)
	v_and_b32_e32 v72, 0xffff, v72
	v_lshlrev_b32_e32 v72, 4, v72
	ds_store_b128 v72, v[100:103] offset:1408
	ds_store_b128 v72, v[108:111] offset:1760
	ds_store_b128 v72, v[68:71]
	ds_store_b128 v72, v[80:83] offset:352
	ds_store_b128 v72, v[76:79] offset:704
	ds_store_b128 v72, v[116:119] offset:1056
	ds_store_b128 v72, v[112:115] offset:2112
.LBB0_11:
	s_wait_alu 0xfffe
	s_or_b32 exec_lo, exec_lo, s1
	v_lshlrev_b32_e32 v84, 6, v226
	global_wb scope:SCOPE_SE
	s_wait_dscnt 0x0
	s_barrier_signal -1
	s_barrier_wait -1
	global_inv scope:SCOPE_SE
	s_clause 0x3
	global_load_b128 v[68:71], v84, s[2:3] offset:2288
	global_load_b128 v[80:83], v84, s[2:3] offset:2304
	;; [unrolled: 1-line block ×4, first 2 shown]
	ds_load_b128 v[85:88], v227 offset:4928
	ds_load_b128 v[89:92], v227 offset:9856
	;; [unrolled: 1-line block ×8, first 2 shown]
	s_mov_b32 s10, 0x134454ff
	s_mov_b32 s11, 0x3fee6f0e
	s_mov_b32 s15, 0xbfee6f0e
	s_wait_alu 0xfffe
	s_mov_b32 s14, s10
	v_add_co_u32 v84, s1, s2, v84
	s_wait_alu 0xf1ff
	v_add_co_ci_u32_e64 v99, null, s3, 0, s1
	s_wait_loadcnt_dscnt 0x307
	v_mul_f64_e32 v[140:141], v[85:86], v[70:71]
	s_wait_loadcnt_dscnt 0x206
	v_mul_f64_e32 v[136:137], v[91:92], v[82:83]
	;; [unrolled: 2-line block ×3, first 2 shown]
	v_mul_f64_e32 v[144:145], v[89:90], v[82:83]
	v_mul_f64_e32 v[146:147], v[93:94], v[78:79]
	;; [unrolled: 1-line block ×3, first 2 shown]
	s_wait_loadcnt_dscnt 0x4
	v_mul_f64_e32 v[142:143], v[106:107], v[74:75]
	v_mul_f64_e32 v[148:149], v[104:105], v[74:75]
	s_wait_dscnt 0x2
	v_mul_f64_e32 v[152:153], v[126:127], v[82:83]
	s_wait_dscnt 0x1
	v_mul_f64_e32 v[154:155], v[130:131], v[78:79]
	v_mul_f64_e32 v[156:157], v[124:125], v[82:83]
	;; [unrolled: 1-line block ×4, first 2 shown]
	s_wait_dscnt 0x0
	v_mul_f64_e32 v[158:159], v[134:135], v[74:75]
	v_mul_f64_e32 v[162:163], v[120:121], v[70:71]
	;; [unrolled: 1-line block ×3, first 2 shown]
	v_fma_f64 v[136:137], v[89:90], v[80:81], -v[136:137]
	v_fma_f64 v[93:94], v[93:94], v[76:77], -v[138:139]
	v_fma_f64 v[138:139], v[87:88], v[68:69], v[140:141]
	v_fma_f64 v[140:141], v[91:92], v[80:81], v[144:145]
	;; [unrolled: 1-line block ×3, first 2 shown]
	v_fma_f64 v[97:98], v[85:86], v[68:69], -v[97:98]
	v_fma_f64 v[104:105], v[104:105], v[72:73], -v[142:143]
	v_fma_f64 v[106:107], v[106:107], v[72:73], v[148:149]
	v_fma_f64 v[124:125], v[124:125], v[80:81], -v[152:153]
	v_fma_f64 v[128:129], v[128:129], v[76:77], -v[154:155]
	v_fma_f64 v[126:127], v[126:127], v[80:81], v[156:157]
	v_fma_f64 v[130:131], v[130:131], v[76:77], v[160:161]
	v_fma_f64 v[120:121], v[120:121], v[68:69], -v[150:151]
	v_fma_f64 v[132:133], v[132:133], v[72:73], -v[158:159]
	v_fma_f64 v[122:123], v[122:123], v[68:69], v[162:163]
	v_fma_f64 v[134:135], v[134:135], v[72:73], v[165:166]
	ds_load_b128 v[85:88], v227
	ds_load_b128 v[89:92], v227 offset:2464
	global_wb scope:SCOPE_SE
	s_wait_dscnt 0x0
	s_barrier_signal -1
	s_barrier_wait -1
	global_inv scope:SCOPE_SE
	v_add_f64_e32 v[142:143], v[136:137], v[93:94]
	v_add_f64_e32 v[165:166], v[87:88], v[138:139]
	v_add_f64_e64 v[181:182], v[138:139], -v[140:141]
	v_add_f64_e32 v[146:147], v[140:141], v[95:96]
	v_add_f64_e32 v[158:159], v[85:86], v[97:98]
	;; [unrolled: 1-line block ×4, first 2 shown]
	v_add_f64_e64 v[160:161], v[138:139], -v[106:107]
	v_add_f64_e32 v[150:151], v[124:125], v[128:129]
	v_add_f64_e64 v[171:172], v[97:98], -v[104:105]
	v_add_f64_e32 v[154:155], v[126:127], v[130:131]
	v_add_f64_e32 v[167:168], v[89:90], v[120:121]
	;; [unrolled: 1-line block ×3, first 2 shown]
	v_add_f64_e64 v[162:163], v[140:141], -v[95:96]
	v_add_f64_e32 v[156:157], v[122:123], v[134:135]
	v_add_f64_e32 v[169:170], v[91:92], v[122:123]
	v_add_f64_e64 v[173:174], v[122:123], -v[134:135]
	v_add_f64_e64 v[175:176], v[120:121], -v[132:133]
	;; [unrolled: 1-line block ×15, first 2 shown]
	v_fma_f64 v[142:143], v[142:143], -0.5, v[85:86]
	v_add_f64_e32 v[140:141], v[165:166], v[140:141]
	v_fma_f64 v[146:147], v[146:147], -0.5, v[87:88]
	v_fma_f64 v[85:86], v[144:145], -0.5, v[85:86]
	v_add_f64_e64 v[144:145], v[136:137], -v[93:94]
	v_fma_f64 v[87:88], v[148:149], -0.5, v[87:88]
	v_fma_f64 v[150:151], v[150:151], -0.5, v[89:90]
	v_add_f64_e64 v[148:149], v[126:127], -v[130:131]
	;; [unrolled: 3-line block ×3, first 2 shown]
	v_fma_f64 v[91:92], v[156:157], -0.5, v[91:92]
	v_add_f64_e64 v[156:157], v[97:98], -v[136:137]
	v_add_f64_e64 v[97:98], v[136:137], -v[97:98]
	v_add_f64_e32 v[136:137], v[158:159], v[136:137]
	v_add_f64_e32 v[124:125], v[167:168], v[124:125]
	;; [unrolled: 1-line block ×5, first 2 shown]
	v_fma_f64 v[158:159], v[160:161], s[10:11], v[142:143]
	s_wait_alu 0xfffe
	v_fma_f64 v[142:143], v[160:161], s[14:15], v[142:143]
	v_add_f64_e32 v[95:96], v[140:141], v[95:96]
	v_fma_f64 v[167:168], v[171:172], s[14:15], v[146:147]
	v_fma_f64 v[146:147], v[171:172], s[10:11], v[146:147]
	;; [unrolled: 1-line block ×14, first 2 shown]
	s_mov_b32 s10, 0x4755a5e
	s_mov_b32 s11, 0x3fe2cf23
	s_mov_b32 s15, 0xbfe2cf23
	s_wait_alu 0xfffe
	s_mov_b32 s14, s10
	v_add_f64_e32 v[93:94], v[136:137], v[93:94]
	v_add_f64_e32 v[156:157], v[156:157], v[177:178]
	;; [unrolled: 1-line block ×9, first 2 shown]
	v_fma_f64 v[124:125], v[162:163], s[10:11], v[158:159]
	s_wait_alu 0xfffe
	v_fma_f64 v[126:127], v[162:163], s[14:15], v[142:143]
	v_fma_f64 v[136:137], v[144:145], s[14:15], v[167:168]
	;; [unrolled: 1-line block ×15, first 2 shown]
	s_mov_b32 s10, 0x372fe950
	s_mov_b32 s11, 0x3fd3c6ef
	v_add_f64_e32 v[87:88], v[95:96], v[106:107]
	v_add_f64_e32 v[85:86], v[93:94], v[104:105]
	;; [unrolled: 1-line block ×4, first 2 shown]
	s_wait_alu 0xfffe
	v_fma_f64 v[93:94], v[156:157], s[10:11], v[124:125]
	v_fma_f64 v[104:105], v[156:157], s[10:11], v[126:127]
	;; [unrolled: 1-line block ×16, first 2 shown]
	v_mul_i32_i24_e32 v98, 0xffffffd0, v226
	v_mul_hi_i32_i24_e32 v97, 0xffffffd0, v226
	ds_store_b128 v227, v[85:88]
	ds_store_b128 v227, v[93:96] offset:2464
	ds_store_b128 v227, v[120:123] offset:4928
	;; [unrolled: 1-line block ×9, first 2 shown]
	v_add_co_u32 v144, s1, v84, v98
	s_wait_alu 0xf1ff
	v_add_co_ci_u32_e64 v145, s1, v99, v97, s1
	global_wb scope:SCOPE_SE
	s_wait_dscnt 0x0
	s_barrier_signal -1
	s_barrier_wait -1
	global_inv scope:SCOPE_SE
	s_clause 0x4
	global_load_b128 v[84:87], v[144:145], off offset:12144
	global_load_b128 v[88:91], v[144:145], off offset:14608
	;; [unrolled: 1-line block ×5, first 2 shown]
	ds_load_b128 v[120:123], v227 offset:12320
	ds_load_b128 v[124:127], v227 offset:14784
	;; [unrolled: 1-line block ×6, first 2 shown]
	s_wait_loadcnt_dscnt 0x405
	v_mul_f64_e32 v[140:141], v[122:123], v[86:87]
	v_mul_f64_e32 v[142:143], v[120:121], v[86:87]
	s_wait_loadcnt_dscnt 0x304
	v_mul_f64_e32 v[144:145], v[126:127], v[90:91]
	v_mul_f64_e32 v[146:147], v[124:125], v[90:91]
	;; [unrolled: 3-line block ×5, first 2 shown]
	v_fma_f64 v[140:141], v[120:121], v[84:85], -v[140:141]
	v_fma_f64 v[142:143], v[122:123], v[84:85], v[142:143]
	v_fma_f64 v[124:125], v[124:125], v[88:89], -v[144:145]
	v_fma_f64 v[126:127], v[126:127], v[88:89], v[146:147]
	;; [unrolled: 2-line block ×5, first 2 shown]
	ds_load_b128 v[120:123], v227
	ds_load_b128 v[132:135], v227 offset:2464
	ds_load_b128 v[144:147], v227 offset:4928
	;; [unrolled: 1-line block ×3, first 2 shown]
	s_wait_dscnt 0x3
	v_add_f64_e64 v[148:149], v[120:121], -v[140:141]
	v_add_f64_e64 v[150:151], v[122:123], -v[142:143]
	s_wait_dscnt 0x2
	v_add_f64_e64 v[152:153], v[132:133], -v[124:125]
	v_add_f64_e64 v[154:155], v[134:135], -v[126:127]
	;; [unrolled: 3-line block ×4, first 2 shown]
	v_add_f64_e64 v[128:129], v[165:166], -v[156:157]
	v_add_f64_e64 v[130:131], v[167:168], -v[158:159]
	v_fma_f64 v[124:125], v[120:121], 2.0, -v[148:149]
	v_fma_f64 v[126:127], v[122:123], 2.0, -v[150:151]
	;; [unrolled: 1-line block ×10, first 2 shown]
	ds_store_b128 v227, v[152:155] offset:14784
	ds_store_b128 v227, v[140:143] offset:17248
	;; [unrolled: 1-line block ×4, first 2 shown]
	ds_store_b128 v227, v[124:127]
	ds_store_b128 v227, v[160:163] offset:2464
	ds_store_b128 v227, v[156:159] offset:4928
	;; [unrolled: 1-line block ×5, first 2 shown]
	global_wb scope:SCOPE_SE
	s_wait_dscnt 0x0
	s_barrier_signal -1
	s_barrier_wait -1
	global_inv scope:SCOPE_SE
	s_and_saveexec_b32 s1, vcc_lo
	s_cbranch_execz .LBB0_13
; %bb.12:
	global_load_b128 v[120:123], v225, s[12:13] offset:24640
	s_add_nc_u64 s[2:3], s[12:13], 0x6040
	s_clause 0x6
	global_load_b128 v[165:168], v225, s[2:3] offset:2240
	global_load_b128 v[169:172], v225, s[2:3] offset:4480
	;; [unrolled: 1-line block ×7, first 2 shown]
	ds_load_b128 v[185:188], v227
	s_wait_loadcnt_dscnt 0x700
	v_mul_f64_e32 v[197:198], v[187:188], v[122:123]
	v_mul_f64_e32 v[122:123], v[185:186], v[122:123]
	s_delay_alu instid0(VALU_DEP_2) | instskip(NEXT) | instid1(VALU_DEP_2)
	v_fma_f64 v[185:186], v[185:186], v[120:121], -v[197:198]
	v_fma_f64 v[187:188], v[187:188], v[120:121], v[122:123]
	ds_store_b128 v227, v[185:188]
	ds_load_b128 v[120:123], v225 offset:2240
	ds_load_b128 v[185:188], v225 offset:4480
	s_wait_loadcnt_dscnt 0x601
	v_mul_f64_e32 v[197:198], v[122:123], v[167:168]
	v_mul_f64_e32 v[167:168], v[120:121], v[167:168]
	s_delay_alu instid0(VALU_DEP_2) | instskip(SKIP_3) | instid1(VALU_DEP_4)
	v_fma_f64 v[120:121], v[120:121], v[165:166], -v[197:198]
	s_wait_loadcnt_dscnt 0x500
	v_mul_f64_e32 v[197:198], v[187:188], v[171:172]
	v_mul_f64_e32 v[171:172], v[185:186], v[171:172]
	v_fma_f64 v[122:123], v[122:123], v[165:166], v[167:168]
	ds_load_b128 v[165:168], v225 offset:6720
	v_fma_f64 v[185:186], v[185:186], v[169:170], -v[197:198]
	v_fma_f64 v[187:188], v[187:188], v[169:170], v[171:172]
	ds_load_b128 v[169:172], v225 offset:8960
	s_wait_loadcnt_dscnt 0x401
	v_mul_f64_e32 v[197:198], v[167:168], v[175:176]
	v_mul_f64_e32 v[175:176], v[165:166], v[175:176]
	s_delay_alu instid0(VALU_DEP_2) | instskip(SKIP_3) | instid1(VALU_DEP_4)
	v_fma_f64 v[165:166], v[165:166], v[173:174], -v[197:198]
	s_wait_loadcnt_dscnt 0x300
	v_mul_f64_e32 v[197:198], v[171:172], v[179:180]
	v_mul_f64_e32 v[179:180], v[169:170], v[179:180]
	v_fma_f64 v[167:168], v[167:168], v[173:174], v[175:176]
	ds_load_b128 v[173:176], v225 offset:11200
	v_fma_f64 v[169:170], v[169:170], v[177:178], -v[197:198]
	v_fma_f64 v[171:172], v[171:172], v[177:178], v[179:180]
	ds_load_b128 v[177:180], v225 offset:13440
	s_wait_loadcnt_dscnt 0x201
	v_mul_f64_e32 v[197:198], v[175:176], v[183:184]
	v_mul_f64_e32 v[183:184], v[173:174], v[183:184]
	s_delay_alu instid0(VALU_DEP_2) | instskip(SKIP_3) | instid1(VALU_DEP_4)
	v_fma_f64 v[173:174], v[173:174], v[181:182], -v[197:198]
	s_wait_loadcnt_dscnt 0x100
	v_mul_f64_e32 v[197:198], v[179:180], v[191:192]
	v_mul_f64_e32 v[191:192], v[177:178], v[191:192]
	v_fma_f64 v[175:176], v[175:176], v[181:182], v[183:184]
	ds_load_b128 v[181:184], v225 offset:15680
	v_fma_f64 v[177:178], v[177:178], v[189:190], -v[197:198]
	v_fma_f64 v[179:180], v[179:180], v[189:190], v[191:192]
	ds_load_b128 v[189:192], v225 offset:17920
	s_wait_loadcnt_dscnt 0x1
	v_mul_f64_e32 v[197:198], v[183:184], v[195:196]
	v_mul_f64_e32 v[195:196], v[181:182], v[195:196]
	s_delay_alu instid0(VALU_DEP_2) | instskip(NEXT) | instid1(VALU_DEP_2)
	v_fma_f64 v[181:182], v[181:182], v[193:194], -v[197:198]
	v_fma_f64 v[183:184], v[183:184], v[193:194], v[195:196]
	s_clause 0x1
	global_load_b128 v[193:196], v225, s[2:3] offset:17920
	global_load_b128 v[197:200], v225, s[2:3] offset:20160
	s_wait_loadcnt_dscnt 0x100
	v_mul_f64_e32 v[201:202], v[191:192], v[195:196]
	v_mul_f64_e32 v[195:196], v[189:190], v[195:196]
	s_delay_alu instid0(VALU_DEP_2) | instskip(NEXT) | instid1(VALU_DEP_2)
	v_fma_f64 v[189:190], v[189:190], v[193:194], -v[201:202]
	v_fma_f64 v[191:192], v[191:192], v[193:194], v[195:196]
	ds_load_b128 v[193:196], v225 offset:20160
	ds_load_b128 v[201:204], v225 offset:22400
	s_wait_loadcnt_dscnt 0x1
	v_mul_f64_e32 v[205:206], v[195:196], v[199:200]
	v_mul_f64_e32 v[199:200], v[193:194], v[199:200]
	s_delay_alu instid0(VALU_DEP_2) | instskip(NEXT) | instid1(VALU_DEP_2)
	v_fma_f64 v[193:194], v[193:194], v[197:198], -v[205:206]
	v_fma_f64 v[195:196], v[195:196], v[197:198], v[199:200]
	global_load_b128 v[197:200], v225, s[2:3] offset:22400
	s_wait_loadcnt_dscnt 0x0
	v_mul_f64_e32 v[205:206], v[203:204], v[199:200]
	v_mul_f64_e32 v[207:208], v[201:202], v[199:200]
	s_delay_alu instid0(VALU_DEP_2) | instskip(NEXT) | instid1(VALU_DEP_2)
	v_fma_f64 v[199:200], v[201:202], v[197:198], -v[205:206]
	v_fma_f64 v[201:202], v[203:204], v[197:198], v[207:208]
	ds_store_b128 v225, v[120:123] offset:2240
	ds_store_b128 v225, v[185:188] offset:4480
	;; [unrolled: 1-line block ×10, first 2 shown]
.LBB0_13:
	s_wait_alu 0xfffe
	s_or_b32 exec_lo, exec_lo, s1
	global_wb scope:SCOPE_SE
	s_wait_dscnt 0x0
	s_barrier_signal -1
	s_barrier_wait -1
	global_inv scope:SCOPE_SE
	s_and_saveexec_b32 s1, vcc_lo
	s_cbranch_execz .LBB0_15
; %bb.14:
	ds_load_b128 v[124:127], v227
	ds_load_b128 v[148:151], v227 offset:2240
	ds_load_b128 v[160:163], v227 offset:4480
	;; [unrolled: 1-line block ×10, first 2 shown]
.LBB0_15:
	s_wait_alu 0xfffe
	s_or_b32 exec_lo, exec_lo, s1
	s_wait_dscnt 0x0
	v_add_f64_e64 v[215:216], v[150:151], -v[118:119]
	v_add_f64_e32 v[217:218], v[150:151], v[118:119]
	s_mov_b32 s2, 0x8764f0ba
	s_mov_b32 s16, 0xf8bb580b
	s_mov_b32 s3, 0x3feaeb8c
	s_mov_b32 s17, 0xbfe14ced
	v_add_f64_e32 v[213:214], v[148:149], v[116:117]
	v_add_f64_e64 v[219:220], v[148:149], -v[116:117]
	v_add_f64_e64 v[189:190], v[162:163], -v[130:131]
	v_add_f64_e32 v[169:170], v[162:163], v[130:131]
	s_mov_b32 s10, 0xd9c712b6
	s_mov_b32 s14, 0x8eee2c13
	s_mov_b32 s11, 0x3fda9628
	s_mov_b32 s15, 0xbfed1bb4
	v_add_f64_e32 v[165:166], v[160:161], v[128:129]
	v_add_f64_e64 v[167:168], v[160:161], -v[128:129]
	;; [unrolled: 8-line block ×3, first 2 shown]
	v_add_f64_e32 v[191:192], v[158:159], v[138:139]
	v_add_f64_e64 v[207:208], v[158:159], -v[138:139]
	s_mov_b32 s22, 0x7f775887
	s_mov_b32 s24, 0xbb3a28a1
	;; [unrolled: 1-line block ×4, first 2 shown]
	v_add_f64_e32 v[183:184], v[156:157], v[136:137]
	v_add_f64_e64 v[187:188], v[156:157], -v[136:137]
	v_add_f64_e32 v[205:206], v[142:143], v[146:147]
	v_add_f64_e64 v[209:210], v[142:143], -v[146:147]
	s_mov_b32 s29, 0xbfd207e7
	s_mov_b32 s28, 0xfd768dbf
	v_add_f64_e64 v[211:212], v[140:141], -v[144:145]
	global_wb scope:SCOPE_SE
	s_wait_alu 0xfffe
	v_mul_f64_e32 v[221:222], s[16:17], v[215:216]
	v_mul_f64_e32 v[223:224], s[2:3], v[217:218]
	s_barrier_signal -1
	s_barrier_wait -1
	global_inv scope:SCOPE_SE
	v_mul_f64_e32 v[171:172], s[14:15], v[189:190]
	v_mul_f64_e32 v[175:176], s[10:11], v[169:170]
	v_mul_f64_e32 v[181:182], s[20:21], v[197:198]
	v_mul_f64_e32 v[185:186], s[18:19], v[179:180]
	v_mul_f64_e32 v[199:200], s[22:23], v[191:192]
	v_mul_f64_e32 v[193:194], s[24:25], v[207:208]
	v_mul_f64_e32 v[203:204], s[26:27], v[205:206]
	v_fma_f64 v[120:121], v[213:214], s[2:3], -v[221:222]
	v_fma_f64 v[122:123], v[219:220], s[16:17], v[223:224]
	v_fma_f64 v[195:196], v[165:166], s[10:11], -v[171:172]
	v_fma_f64 v[201:202], v[167:168], s[14:15], v[175:176]
	;; [unrolled: 2-line block ×3, first 2 shown]
	v_fma_f64 v[243:244], v[187:188], s[24:25], v[199:200]
	v_fma_f64 v[241:242], v[183:184], s[22:23], -v[193:194]
	v_add_f64_e32 v[120:121], v[124:125], v[120:121]
	v_add_f64_e32 v[122:123], v[126:127], v[122:123]
	s_delay_alu instid0(VALU_DEP_2) | instskip(NEXT) | instid1(VALU_DEP_2)
	v_add_f64_e32 v[120:121], v[195:196], v[120:121]
	v_add_f64_e32 v[122:123], v[201:202], v[122:123]
	;; [unrolled: 1-line block ×3, first 2 shown]
	v_mul_f64_e32 v[201:202], s[28:29], v[209:210]
	s_delay_alu instid0(VALU_DEP_4) | instskip(NEXT) | instid1(VALU_DEP_4)
	v_add_f64_e32 v[120:121], v[237:238], v[120:121]
	v_add_f64_e32 v[122:123], v[239:240], v[122:123]
	v_fma_f64 v[239:240], v[211:212], s[28:29], v[203:204]
	s_delay_alu instid0(VALU_DEP_4) | instskip(NEXT) | instid1(VALU_DEP_4)
	v_fma_f64 v[237:238], v[195:196], s[26:27], -v[201:202]
	v_add_f64_e32 v[120:121], v[241:242], v[120:121]
	s_delay_alu instid0(VALU_DEP_4) | instskip(NEXT) | instid1(VALU_DEP_2)
	v_add_f64_e32 v[122:123], v[243:244], v[122:123]
	v_add_f64_e32 v[120:121], v[237:238], v[120:121]
	s_delay_alu instid0(VALU_DEP_2)
	v_add_f64_e32 v[122:123], v[239:240], v[122:123]
	s_and_saveexec_b32 s1, vcc_lo
	s_cbranch_execz .LBB0_17
; %bb.16:
	v_add_f64_e32 v[148:149], v[124:125], v[148:149]
	v_add_f64_e32 v[150:151], v[126:127], v[150:151]
	s_mov_b32 s31, 0x3fe14ced
	s_mov_b32 s30, s16
	;; [unrolled: 1-line block ×4, first 2 shown]
	v_mul_f64_e32 v[237:238], s[20:21], v[209:210]
	s_mov_b32 s37, 0x3fefac9e
	s_mov_b32 s36, s20
	s_wait_alu 0xfffe
	v_mul_f64_e32 v[241:242], s[30:31], v[211:212]
	v_mul_f64_e32 v[239:240], s[36:37], v[207:208]
	;; [unrolled: 1-line block ×3, first 2 shown]
	v_add_f64_e32 v[148:149], v[148:149], v[160:161]
	v_add_f64_e32 v[150:151], v[150:151], v[162:163]
	v_mul_f64_e32 v[162:163], s[2:3], v[213:214]
	s_delay_alu instid0(VALU_DEP_3) | instskip(NEXT) | instid1(VALU_DEP_3)
	v_add_f64_e32 v[148:149], v[148:149], v[152:153]
	v_add_f64_e32 v[150:151], v[150:151], v[154:155]
	v_mul_f64_e32 v[152:153], s[14:15], v[215:216]
	s_delay_alu instid0(VALU_DEP_4) | instskip(NEXT) | instid1(VALU_DEP_4)
	v_add_f64_e32 v[162:163], v[162:163], v[221:222]
	v_add_f64_e32 v[148:149], v[148:149], v[156:157]
	s_delay_alu instid0(VALU_DEP_4) | instskip(NEXT) | instid1(VALU_DEP_4)
	v_add_f64_e32 v[150:151], v[150:151], v[158:159]
	v_fma_f64 v[160:161], v[213:214], s[10:11], v[152:153]
	v_fma_f64 v[152:153], v[213:214], s[10:11], -v[152:153]
	v_add_f64_e32 v[162:163], v[124:125], v[162:163]
	v_add_f64_e32 v[140:141], v[148:149], v[140:141]
	;; [unrolled: 1-line block ×3, first 2 shown]
	v_mul_f64_e32 v[148:149], s[24:25], v[215:216]
	v_mul_f64_e32 v[150:151], s[20:21], v[215:216]
	v_add_f64_e32 v[160:161], v[124:125], v[160:161]
	v_add_f64_e32 v[152:153], v[124:125], v[152:153]
	;; [unrolled: 1-line block ×4, first 2 shown]
	v_mul_f64_e32 v[146:147], s[28:29], v[215:216]
	v_fma_f64 v[156:157], v[213:214], s[22:23], -v[148:149]
	v_fma_f64 v[148:149], v[213:214], s[22:23], v[148:149]
	v_fma_f64 v[158:159], v[213:214], s[18:19], v[150:151]
	v_fma_f64 v[150:151], v[213:214], s[18:19], -v[150:151]
	v_mul_f64_e32 v[144:145], s[16:17], v[219:220]
	v_add_f64_e32 v[136:137], v[140:141], v[136:137]
	v_add_f64_e32 v[138:139], v[142:143], v[138:139]
	v_mul_f64_e32 v[140:141], s[14:15], v[219:220]
	v_fma_f64 v[154:155], v[213:214], s[26:27], -v[146:147]
	v_fma_f64 v[146:147], v[213:214], s[26:27], v[146:147]
	v_add_f64_e32 v[156:157], v[124:125], v[156:157]
	v_add_f64_e32 v[148:149], v[124:125], v[148:149]
	;; [unrolled: 1-line block ×4, first 2 shown]
	v_add_f64_e64 v[144:145], v[223:224], -v[144:145]
	v_mul_f64_e32 v[223:224], s[20:21], v[211:212]
	v_add_f64_e32 v[132:133], v[136:137], v[132:133]
	v_add_f64_e32 v[134:135], v[138:139], v[134:135]
	v_mul_f64_e32 v[136:137], s[20:21], v[219:220]
	v_fma_f64 v[142:143], v[217:218], s[10:11], -v[140:141]
	v_fma_f64 v[140:141], v[217:218], s[10:11], v[140:141]
	v_add_f64_e32 v[154:155], v[124:125], v[154:155]
	v_add_f64_e32 v[146:147], v[124:125], v[146:147]
	;; [unrolled: 1-line block ×4, first 2 shown]
	v_mul_f64_e32 v[132:133], s[24:25], v[219:220]
	v_add_f64_e32 v[130:131], v[134:135], v[130:131]
	v_fma_f64 v[138:139], v[217:218], s[18:19], -v[136:137]
	v_fma_f64 v[136:137], v[217:218], s[18:19], v[136:137]
	v_add_f64_e32 v[142:143], v[126:127], v[142:143]
	v_add_f64_e32 v[116:117], v[128:129], v[116:117]
	v_mul_f64_e32 v[128:129], s[28:29], v[219:220]
	v_fma_f64 v[134:135], v[217:218], s[22:23], v[132:133]
	v_fma_f64 v[132:133], v[217:218], s[22:23], -v[132:133]
	v_add_f64_e32 v[118:119], v[130:131], v[118:119]
	v_add_f64_e32 v[215:216], v[126:127], v[138:139]
	;; [unrolled: 1-line block ×3, first 2 shown]
	v_fma_f64 v[130:131], v[217:218], s[26:27], v[128:129]
	v_fma_f64 v[128:129], v[217:218], s[26:27], -v[128:129]
	v_add_f64_e32 v[213:214], v[126:127], v[132:133]
	v_mul_f64_e32 v[132:133], s[30:31], v[167:168]
	v_add_f64_e32 v[217:218], v[126:127], v[136:137]
	v_mul_f64_e32 v[136:137], s[24:25], v[177:178]
	v_add_f64_e32 v[134:135], v[126:127], v[134:135]
	v_add_f64_e32 v[130:131], v[126:127], v[130:131]
	;; [unrolled: 1-line block ×3, first 2 shown]
	v_fma_f64 v[124:125], v[169:170], s[2:3], v[132:133]
	v_fma_f64 v[132:133], v[169:170], s[2:3], -v[132:133]
	v_fma_f64 v[138:139], v[179:180], s[22:23], v[136:137]
	s_delay_alu instid0(VALU_DEP_3) | instskip(SKIP_1) | instid1(VALU_DEP_4)
	v_add_f64_e32 v[124:125], v[124:125], v[130:131]
	v_mul_f64_e32 v[130:131], s[30:31], v[189:190]
	v_add_f64_e32 v[128:129], v[132:133], v[128:129]
	v_fma_f64 v[132:133], v[179:180], s[22:23], -v[136:137]
	v_fma_f64 v[136:137], v[195:196], s[18:19], v[237:238]
	v_add_f64_e32 v[124:125], v[138:139], v[124:125]
	v_fma_f64 v[126:127], v[165:166], s[2:3], -v[130:131]
	v_mul_f64_e32 v[138:139], s[24:25], v[197:198]
	v_fma_f64 v[130:131], v[165:166], s[2:3], v[130:131]
	v_add_f64_e32 v[128:129], v[132:133], v[128:129]
	s_delay_alu instid0(VALU_DEP_4) | instskip(NEXT) | instid1(VALU_DEP_4)
	v_add_f64_e32 v[126:127], v[126:127], v[154:155]
	v_fma_f64 v[140:141], v[173:174], s[22:23], -v[138:139]
	s_delay_alu instid0(VALU_DEP_4) | instskip(SKIP_2) | instid1(VALU_DEP_4)
	v_add_f64_e32 v[130:131], v[130:131], v[146:147]
	v_fma_f64 v[132:133], v[173:174], s[22:23], v[138:139]
	v_mul_f64_e32 v[138:139], s[36:37], v[189:190]
	v_add_f64_e32 v[126:127], v[140:141], v[126:127]
	v_mul_f64_e32 v[140:141], s[34:35], v[187:188]
	s_delay_alu instid0(VALU_DEP_4) | instskip(NEXT) | instid1(VALU_DEP_2)
	v_add_f64_e32 v[130:131], v[132:133], v[130:131]
	v_fma_f64 v[144:145], v[191:192], s[10:11], v[140:141]
	v_fma_f64 v[132:133], v[191:192], s[10:11], -v[140:141]
	v_mul_f64_e32 v[140:141], s[16:17], v[177:178]
	s_delay_alu instid0(VALU_DEP_3) | instskip(SKIP_1) | instid1(VALU_DEP_4)
	v_add_f64_e32 v[124:125], v[144:145], v[124:125]
	v_mul_f64_e32 v[144:145], s[34:35], v[207:208]
	v_add_f64_e32 v[128:129], v[132:133], v[128:129]
	s_delay_alu instid0(VALU_DEP_2) | instskip(SKIP_3) | instid1(VALU_DEP_4)
	v_fma_f64 v[132:133], v[183:184], s[10:11], v[144:145]
	v_fma_f64 v[154:155], v[183:184], s[10:11], -v[144:145]
	v_fma_f64 v[144:145], v[179:180], s[2:3], v[140:141]
	v_fma_f64 v[140:141], v[179:180], s[2:3], -v[140:141]
	v_add_f64_e32 v[132:133], v[132:133], v[130:131]
	v_fma_f64 v[130:131], v[205:206], s[18:19], -v[223:224]
	v_add_f64_e32 v[154:155], v[154:155], v[126:127]
	v_fma_f64 v[126:127], v[205:206], s[18:19], v[223:224]
	v_mul_f64_e32 v[223:224], s[34:35], v[211:212]
	s_delay_alu instid0(VALU_DEP_4)
	v_add_f64_e32 v[130:131], v[130:131], v[128:129]
	v_add_f64_e32 v[128:129], v[136:137], v[132:133]
	v_mul_f64_e32 v[136:137], s[36:37], v[167:168]
	v_add_f64_e32 v[126:127], v[126:127], v[124:125]
	v_fma_f64 v[124:125], v[195:196], s[18:19], -v[237:238]
	v_mul_f64_e32 v[237:238], s[34:35], v[209:210]
	v_mul_f64_e32 v[209:210], s[24:25], v[209:210]
	v_fma_f64 v[132:133], v[169:170], s[18:19], v[136:137]
	v_fma_f64 v[136:137], v[169:170], s[18:19], -v[136:137]
	v_add_f64_e32 v[124:125], v[124:125], v[154:155]
	s_delay_alu instid0(VALU_DEP_3) | instskip(SKIP_1) | instid1(VALU_DEP_4)
	v_add_f64_e32 v[132:133], v[132:133], v[134:135]
	v_fma_f64 v[134:135], v[165:166], s[18:19], -v[138:139]
	v_add_f64_e32 v[136:137], v[136:137], v[213:214]
	v_fma_f64 v[138:139], v[165:166], s[18:19], v[138:139]
	s_delay_alu instid0(VALU_DEP_4) | instskip(SKIP_2) | instid1(VALU_DEP_4)
	v_add_f64_e32 v[132:133], v[144:145], v[132:133]
	v_mul_f64_e32 v[144:145], s[16:17], v[197:198]
	v_add_f64_e32 v[134:135], v[134:135], v[156:157]
	v_add_f64_e32 v[138:139], v[138:139], v[148:149]
	;; [unrolled: 1-line block ×3, first 2 shown]
	s_delay_alu instid0(VALU_DEP_4) | instskip(SKIP_2) | instid1(VALU_DEP_3)
	v_fma_f64 v[146:147], v[173:174], s[2:3], -v[144:145]
	v_fma_f64 v[140:141], v[173:174], s[2:3], v[144:145]
	v_fma_f64 v[144:145], v[195:196], s[10:11], v[237:238]
	v_add_f64_e32 v[134:135], v[146:147], v[134:135]
	v_mul_f64_e32 v[146:147], s[28:29], v[187:188]
	s_delay_alu instid0(VALU_DEP_4) | instskip(NEXT) | instid1(VALU_DEP_2)
	v_add_f64_e32 v[138:139], v[140:141], v[138:139]
	v_fma_f64 v[154:155], v[191:192], s[26:27], v[146:147]
	v_fma_f64 v[140:141], v[191:192], s[26:27], -v[146:147]
	s_delay_alu instid0(VALU_DEP_2) | instskip(SKIP_1) | instid1(VALU_DEP_3)
	v_add_f64_e32 v[132:133], v[154:155], v[132:133]
	v_mul_f64_e32 v[154:155], s[28:29], v[207:208]
	v_add_f64_e32 v[136:137], v[140:141], v[136:137]
	v_mul_f64_e32 v[207:208], s[16:17], v[207:208]
	s_delay_alu instid0(VALU_DEP_3) | instskip(SKIP_2) | instid1(VALU_DEP_3)
	v_fma_f64 v[156:157], v[183:184], s[26:27], -v[154:155]
	v_fma_f64 v[140:141], v[183:184], s[26:27], v[154:155]
	v_mul_f64_e32 v[154:155], s[24:25], v[167:168]
	v_add_f64_e32 v[156:157], v[156:157], v[134:135]
	v_fma_f64 v[134:135], v[205:206], s[10:11], v[223:224]
	s_delay_alu instid0(VALU_DEP_4) | instskip(SKIP_1) | instid1(VALU_DEP_3)
	v_add_f64_e32 v[140:141], v[140:141], v[138:139]
	v_fma_f64 v[138:139], v[205:206], s[10:11], -v[223:224]
	v_add_f64_e32 v[134:135], v[134:135], v[132:133]
	v_fma_f64 v[132:133], v[195:196], s[10:11], -v[237:238]
	s_delay_alu instid0(VALU_DEP_3)
	v_add_f64_e32 v[138:139], v[138:139], v[136:137]
	v_add_f64_e32 v[136:137], v[144:145], v[140:141]
	v_fma_f64 v[140:141], v[169:170], s[22:23], -v[154:155]
	v_mul_f64_e32 v[237:238], s[36:37], v[187:188]
	v_fma_f64 v[154:155], v[169:170], s[22:23], v[154:155]
	v_add_f64_e32 v[132:133], v[132:133], v[156:157]
	v_mul_f64_e32 v[156:157], s[24:25], v[189:190]
	v_add_f64_e32 v[140:141], v[140:141], v[142:143]
	s_delay_alu instid0(VALU_DEP_4) | instskip(NEXT) | instid1(VALU_DEP_3)
	v_add_f64_e32 v[154:155], v[154:155], v[219:220]
	v_fma_f64 v[142:143], v[165:166], s[22:23], v[156:157]
	v_fma_f64 v[156:157], v[165:166], s[22:23], -v[156:157]
	s_delay_alu instid0(VALU_DEP_2)
	v_add_f64_e32 v[142:143], v[142:143], v[160:161]
	v_mul_f64_e32 v[160:161], s[28:29], v[211:212]
	s_mov_b32 s29, 0x3fd207e7
	v_mul_f64_e32 v[211:212], s[24:25], v[211:212]
	s_wait_alu 0xfffe
	v_mul_f64_e32 v[213:214], s[28:29], v[177:178]
	v_mul_f64_e32 v[223:224], s[28:29], v[197:198]
	;; [unrolled: 1-line block ×5, first 2 shown]
	v_add_f64_e32 v[152:153], v[156:157], v[152:153]
	v_add_f64_e64 v[160:161], v[203:204], -v[160:161]
	v_fma_f64 v[144:145], v[179:180], s[26:27], -v[213:214]
	v_fma_f64 v[156:157], v[173:174], s[26:27], -v[223:224]
	v_fma_f64 v[146:147], v[165:166], s[26:27], v[189:190]
	v_fma_f64 v[189:190], v[165:166], s[26:27], -v[189:190]
	s_delay_alu instid0(VALU_DEP_4) | instskip(SKIP_1) | instid1(VALU_DEP_4)
	v_add_f64_e32 v[140:141], v[144:145], v[140:141]
	v_fma_f64 v[144:145], v[173:174], s[26:27], v[223:224]
	v_add_f64_e32 v[146:147], v[146:147], v[158:159]
	v_mul_f64_e32 v[158:159], s[34:35], v[177:178]
	v_add_f64_e32 v[150:151], v[189:190], v[150:151]
	v_fma_f64 v[189:190], v[195:196], s[22:23], -v[209:210]
	v_add_f64_e32 v[152:153], v[156:157], v[152:153]
	v_fma_f64 v[156:157], v[183:184], s[18:19], -v[239:240]
	;; [unrolled: 2-line block ×3, first 2 shown]
	s_delay_alu instid0(VALU_DEP_3) | instskip(SKIP_1) | instid1(VALU_DEP_3)
	v_add_f64_e32 v[152:153], v[156:157], v[152:153]
	v_fma_f64 v[156:157], v[195:196], s[2:3], -v[243:244]
	v_add_f64_e32 v[140:141], v[144:145], v[140:141]
	v_fma_f64 v[144:145], v[183:184], s[18:19], v[239:240]
	s_delay_alu instid0(VALU_DEP_3) | instskip(SKIP_2) | instid1(VALU_DEP_4)
	v_add_f64_e32 v[152:153], v[156:157], v[152:153]
	v_mul_f64_e32 v[156:157], s[14:15], v[167:168]
	v_mul_f64_e32 v[167:168], s[18:19], v[173:174]
	v_add_f64_e32 v[144:145], v[144:145], v[142:143]
	v_fma_f64 v[142:143], v[205:206], s[2:3], -v[241:242]
	s_delay_alu instid0(VALU_DEP_4) | instskip(NEXT) | instid1(VALU_DEP_4)
	v_add_f64_e64 v[156:157], v[175:176], -v[156:157]
	v_add_f64_e32 v[167:168], v[167:168], v[181:182]
	s_delay_alu instid0(VALU_DEP_3) | instskip(SKIP_1) | instid1(VALU_DEP_4)
	v_add_f64_e32 v[142:143], v[142:143], v[140:141]
	v_fma_f64 v[140:141], v[195:196], s[2:3], v[243:244]
	v_add_f64_e32 v[156:157], v[156:157], v[221:222]
	s_delay_alu instid0(VALU_DEP_2) | instskip(SKIP_3) | instid1(VALU_DEP_3)
	v_add_f64_e32 v[140:141], v[140:141], v[144:145]
	v_fma_f64 v[144:145], v[169:170], s[26:27], -v[148:149]
	v_fma_f64 v[148:149], v[169:170], s[26:27], v[148:149]
	v_fma_f64 v[169:170], v[191:192], s[18:19], v[237:238]
	v_add_f64_e32 v[144:145], v[144:145], v[215:216]
	v_fma_f64 v[215:216], v[179:180], s[10:11], -v[158:159]
	s_delay_alu instid0(VALU_DEP_4) | instskip(SKIP_1) | instid1(VALU_DEP_3)
	v_add_f64_e32 v[148:149], v[148:149], v[217:218]
	v_fma_f64 v[158:159], v[179:180], s[10:11], v[158:159]
	v_add_f64_e32 v[144:145], v[215:216], v[144:145]
	v_fma_f64 v[215:216], v[173:174], s[10:11], v[197:198]
	s_delay_alu instid0(VALU_DEP_3) | instskip(SKIP_1) | instid1(VALU_DEP_3)
	v_add_f64_e32 v[148:149], v[158:159], v[148:149]
	v_fma_f64 v[158:159], v[173:174], s[10:11], -v[197:198]
	v_add_f64_e32 v[146:147], v[215:216], v[146:147]
	v_mul_f64_e32 v[215:216], s[16:17], v[187:188]
	s_delay_alu instid0(VALU_DEP_3) | instskip(NEXT) | instid1(VALU_DEP_2)
	v_add_f64_e32 v[150:151], v[158:159], v[150:151]
	v_fma_f64 v[158:159], v[191:192], s[2:3], v[215:216]
	v_fma_f64 v[245:246], v[191:192], s[2:3], -v[215:216]
	s_delay_alu instid0(VALU_DEP_2) | instskip(SKIP_1) | instid1(VALU_DEP_3)
	v_add_f64_e32 v[148:149], v[158:159], v[148:149]
	v_fma_f64 v[158:159], v[183:184], s[2:3], -v[207:208]
	v_add_f64_e32 v[144:145], v[245:246], v[144:145]
	v_fma_f64 v[245:246], v[183:184], s[2:3], v[207:208]
	s_delay_alu instid0(VALU_DEP_3) | instskip(SKIP_1) | instid1(VALU_DEP_3)
	v_add_f64_e32 v[158:159], v[158:159], v[150:151]
	v_fma_f64 v[150:151], v[205:206], s[22:23], v[211:212]
	v_add_f64_e32 v[245:246], v[245:246], v[146:147]
	v_fma_f64 v[146:147], v[205:206], s[22:23], -v[211:212]
	s_delay_alu instid0(VALU_DEP_3) | instskip(SKIP_2) | instid1(VALU_DEP_4)
	v_add_f64_e32 v[150:151], v[150:151], v[148:149]
	v_add_f64_e32 v[148:149], v[189:190], v[158:159]
	v_fma_f64 v[158:159], v[179:180], s[26:27], v[213:214]
	v_add_f64_e32 v[146:147], v[146:147], v[144:145]
	v_fma_f64 v[144:145], v[195:196], s[22:23], v[209:210]
	v_fma_f64 v[179:180], v[205:206], s[2:3], v[241:242]
	s_delay_alu instid0(VALU_DEP_4) | instskip(SKIP_3) | instid1(VALU_DEP_4)
	v_add_f64_e32 v[154:155], v[158:159], v[154:155]
	v_mul_f64_e32 v[158:159], s[10:11], v[165:166]
	v_mul_f64_e32 v[165:166], s[20:21], v[177:178]
	v_add_f64_e32 v[144:145], v[144:145], v[245:246]
	v_add_f64_e32 v[154:155], v[169:170], v[154:155]
	s_delay_alu instid0(VALU_DEP_4) | instskip(NEXT) | instid1(VALU_DEP_4)
	v_add_f64_e32 v[158:159], v[158:159], v[171:172]
	v_add_f64_e64 v[165:166], v[185:186], -v[165:166]
	v_mul_f64_e32 v[169:170], s[24:25], v[187:188]
	s_delay_alu instid0(VALU_DEP_4) | instskip(NEXT) | instid1(VALU_DEP_4)
	v_add_f64_e32 v[154:155], v[179:180], v[154:155]
	v_add_f64_e32 v[158:159], v[158:159], v[162:163]
	v_mul_f64_e32 v[162:163], s[22:23], v[183:184]
	s_delay_alu instid0(VALU_DEP_4) | instskip(SKIP_4) | instid1(VALU_DEP_4)
	v_add_f64_e64 v[169:170], v[199:200], -v[169:170]
	v_add_f64_e32 v[156:157], v[165:166], v[156:157]
	v_mul_f64_e32 v[165:166], s[26:27], v[195:196]
	v_add_f64_e32 v[158:159], v[167:168], v[158:159]
	v_add_f64_e32 v[162:163], v[162:163], v[193:194]
	;; [unrolled: 1-line block ×3, first 2 shown]
	s_delay_alu instid0(VALU_DEP_4) | instskip(NEXT) | instid1(VALU_DEP_3)
	v_add_f64_e32 v[165:166], v[165:166], v[201:202]
	v_add_f64_e32 v[162:163], v[162:163], v[158:159]
	s_delay_alu instid0(VALU_DEP_3) | instskip(SKIP_1) | instid1(VALU_DEP_1)
	v_add_f64_e32 v[158:159], v[160:161], v[156:157]
	v_and_b32_e32 v160, 0xffff, v228
	v_lshlrev_b32_e32 v160, 4, v160
	s_delay_alu instid0(VALU_DEP_4)
	v_add_f64_e32 v[156:157], v[165:166], v[162:163]
	ds_store_b128 v160, v[140:143] offset:32
	ds_store_b128 v160, v[144:147] offset:48
	ds_store_b128 v160, v[136:139] offset:64
	ds_store_b128 v160, v[128:131] offset:80
	ds_store_b128 v160, v[124:127] offset:96
	ds_store_b128 v160, v[132:135] offset:112
	ds_store_b128 v160, v[148:151] offset:128
	ds_store_b128 v160, v[152:155] offset:144
	ds_store_b128 v160, v[156:159] offset:16
	ds_store_b128 v160, v[116:119]
	ds_store_b128 v160, v[120:123] offset:160
.LBB0_17:
	s_wait_alu 0xfffe
	s_or_b32 exec_lo, exec_lo, s1
	global_wb scope:SCOPE_SE
	s_wait_dscnt 0x0
	s_barrier_signal -1
	s_barrier_wait -1
	global_inv scope:SCOPE_SE
	ds_load_b128 v[116:119], v227 offset:12320
	ds_load_b128 v[124:127], v227 offset:14784
	ds_load_b128 v[128:131], v227 offset:17248
	ds_load_b128 v[132:135], v227 offset:19712
	ds_load_b128 v[136:139], v227 offset:22176
	ds_load_b128 v[140:143], v227 offset:9856
	s_wait_dscnt 0x5
	v_mul_f64_e32 v[144:145], v[34:35], v[118:119]
	v_mul_f64_e32 v[34:35], v[34:35], v[116:117]
	s_wait_dscnt 0x4
	v_mul_f64_e32 v[146:147], v[38:39], v[126:127]
	v_mul_f64_e32 v[38:39], v[38:39], v[124:125]
	s_wait_dscnt 0x3
	v_mul_f64_e32 v[148:149], v[42:43], v[130:131]
	v_mul_f64_e32 v[42:43], v[42:43], v[128:129]
	s_wait_dscnt 0x2
	v_mul_f64_e32 v[150:151], v[30:31], v[134:135]
	v_mul_f64_e32 v[30:31], v[30:31], v[132:133]
	s_wait_dscnt 0x1
	v_mul_f64_e32 v[152:153], v[26:27], v[138:139]
	v_mul_f64_e32 v[26:27], v[26:27], v[136:137]
	v_fma_f64 v[144:145], v[32:33], v[116:117], v[144:145]
	v_fma_f64 v[154:155], v[32:33], v[118:119], -v[34:35]
	v_fma_f64 v[146:147], v[36:37], v[124:125], v[146:147]
	v_fma_f64 v[156:157], v[36:37], v[126:127], -v[38:39]
	;; [unrolled: 2-line block ×5, first 2 shown]
	ds_load_b128 v[32:35], v227
	ds_load_b128 v[36:39], v227 offset:2464
	ds_load_b128 v[40:43], v227 offset:4928
	;; [unrolled: 1-line block ×3, first 2 shown]
	global_wb scope:SCOPE_SE
	s_wait_dscnt 0x0
	s_barrier_signal -1
	s_barrier_wait -1
	global_inv scope:SCOPE_SE
	v_add_f64_e64 v[124:125], v[32:33], -v[144:145]
	v_add_f64_e64 v[126:127], v[34:35], -v[154:155]
	v_add_f64_e64 v[128:129], v[36:37], -v[146:147]
	v_add_f64_e64 v[130:131], v[38:39], -v[156:157]
	v_add_f64_e64 v[132:133], v[40:41], -v[148:149]
	v_add_f64_e64 v[134:135], v[42:43], -v[158:159]
	v_add_f64_e64 v[24:25], v[116:117], -v[150:151]
	v_add_f64_e64 v[26:27], v[118:119], -v[28:29]
	v_add_f64_e64 v[28:29], v[140:141], -v[30:31]
	v_add_f64_e64 v[30:31], v[142:143], -v[136:137]
	v_fma_f64 v[136:137], v[32:33], 2.0, -v[124:125]
	v_fma_f64 v[138:139], v[34:35], 2.0, -v[126:127]
	;; [unrolled: 1-line block ×10, first 2 shown]
	ds_store_b128 v235, v[136:139]
	ds_store_b128 v235, v[124:127] offset:176
	ds_store_b128 v234, v[36:39]
	ds_store_b128 v234, v[128:131] offset:176
	;; [unrolled: 2-line block ×5, first 2 shown]
	global_wb scope:SCOPE_SE
	s_wait_dscnt 0x0
	s_barrier_signal -1
	s_barrier_wait -1
	global_inv scope:SCOPE_SE
	ds_load_b128 v[36:39], v227
	ds_load_b128 v[132:135], v227 offset:3520
	ds_load_b128 v[128:131], v227 offset:7040
	;; [unrolled: 1-line block ×6, first 2 shown]
	s_and_saveexec_b32 s1, s0
	s_cbranch_execz .LBB0_19
; %bb.18:
	ds_load_b128 v[24:27], v227 offset:2464
	ds_load_b128 v[32:35], v227 offset:5984
	;; [unrolled: 1-line block ×7, first 2 shown]
.LBB0_19:
	s_wait_alu 0xfffe
	s_or_b32 exec_lo, exec_lo, s1
	s_wait_dscnt 0x5
	v_mul_f64_e32 v[140:141], v[66:67], v[134:135]
	v_mul_f64_e32 v[66:67], v[66:67], v[132:133]
	s_wait_dscnt 0x4
	v_mul_f64_e32 v[142:143], v[62:63], v[130:131]
	v_mul_f64_e32 v[62:63], v[62:63], v[128:129]
	;; [unrolled: 3-line block ×3, first 2 shown]
	v_mul_f64_e32 v[146:147], v[50:51], v[126:127]
	v_mul_f64_e32 v[50:51], v[50:51], v[124:125]
	v_mul_f64_e32 v[148:149], v[54:55], v[118:119]
	v_mul_f64_e32 v[54:55], v[54:55], v[116:117]
	v_mul_f64_e32 v[150:151], v[46:47], v[42:43]
	v_mul_f64_e32 v[46:47], v[46:47], v[40:41]
	s_mov_b32 s10, 0x37e14327
	s_mov_b32 s16, 0xe976ee23
	;; [unrolled: 1-line block ×16, first 2 shown]
	s_wait_alu 0xfffe
	s_mov_b32 s22, s18
	s_mov_b32 s26, s24
	;; [unrolled: 1-line block ×4, first 2 shown]
	global_wb scope:SCOPE_SE
	s_barrier_signal -1
	s_barrier_wait -1
	global_inv scope:SCOPE_SE
	v_fma_f64 v[132:133], v[64:65], v[132:133], v[140:141]
	v_fma_f64 v[64:65], v[64:65], v[134:135], -v[66:67]
	v_fma_f64 v[66:67], v[60:61], v[128:129], v[142:143]
	v_fma_f64 v[60:61], v[60:61], v[130:131], -v[62:63]
	v_fma_f64 v[62:63], v[56:57], v[136:137], v[144:145]
	v_fma_f64 v[56:57], v[56:57], v[138:139], -v[58:59]
	v_fma_f64 v[58:59], v[48:49], v[124:125], v[146:147]
	v_fma_f64 v[48:49], v[48:49], v[126:127], -v[50:51]
	v_fma_f64 v[50:51], v[52:53], v[116:117], v[148:149]
	v_fma_f64 v[52:53], v[52:53], v[118:119], -v[54:55]
	v_fma_f64 v[40:41], v[44:45], v[40:41], v[150:151]
	v_fma_f64 v[42:43], v[44:45], v[42:43], -v[46:47]
	v_add_f64_e32 v[44:45], v[132:133], v[62:63]
	v_add_f64_e32 v[46:47], v[64:65], v[56:57]
	;; [unrolled: 1-line block ×4, first 2 shown]
	v_add_f64_e64 v[58:59], v[66:67], -v[58:59]
	v_add_f64_e64 v[48:49], v[60:61], -v[48:49]
	v_add_f64_e32 v[60:61], v[50:51], v[40:41]
	v_add_f64_e32 v[66:67], v[52:53], v[42:43]
	v_add_f64_e64 v[40:41], v[40:41], -v[50:51]
	v_add_f64_e64 v[42:43], v[42:43], -v[52:53]
	;; [unrolled: 1-line block ×4, first 2 shown]
	v_add_f64_e32 v[56:57], v[54:55], v[44:45]
	v_add_f64_e32 v[62:63], v[116:117], v[46:47]
	v_add_f64_e64 v[64:65], v[44:45], -v[60:61]
	v_add_f64_e64 v[118:119], v[46:47], -v[66:67]
	;; [unrolled: 1-line block ×6, first 2 shown]
	v_add_f64_e32 v[58:59], v[40:41], v[58:59]
	v_add_f64_e32 v[48:49], v[42:43], v[48:49]
	v_add_f64_e64 v[40:41], v[50:51], -v[40:41]
	v_add_f64_e64 v[42:43], v[52:53], -v[42:43]
	;; [unrolled: 1-line block ×4, first 2 shown]
	v_add_f64_e32 v[56:57], v[60:61], v[56:57]
	v_add_f64_e32 v[62:63], v[66:67], v[62:63]
	v_add_f64_e64 v[60:61], v[60:61], -v[54:55]
	v_add_f64_e64 v[66:67], v[66:67], -v[116:117]
	v_mul_f64_e32 v[64:65], s[10:11], v[64:65]
	v_mul_f64_e32 v[118:119], s[10:11], v[118:119]
	;; [unrolled: 1-line block ×6, first 2 shown]
	v_add_f64_e32 v[50:51], v[58:59], v[50:51]
	v_add_f64_e32 v[48:49], v[48:49], v[52:53]
	;; [unrolled: 1-line block ×4, first 2 shown]
	v_mul_f64_e32 v[54:55], s[20:21], v[60:61]
	v_mul_f64_e32 v[116:117], s[20:21], v[66:67]
	v_fma_f64 v[52:53], v[60:61], s[20:21], v[64:65]
	v_fma_f64 v[58:59], v[66:67], s[20:21], v[118:119]
	;; [unrolled: 1-line block ×4, first 2 shown]
	v_fma_f64 v[124:125], v[128:129], s[2:3], -v[124:125]
	v_fma_f64 v[126:127], v[130:131], s[2:3], -v[126:127]
	s_wait_alu 0xfffe
	v_fma_f64 v[40:41], v[40:41], s[26:27], -v[132:133]
	v_fma_f64 v[42:43], v[42:43], s[26:27], -v[134:135]
	;; [unrolled: 1-line block ×4, first 2 shown]
	v_fma_f64 v[56:57], v[56:57], s[14:15], v[36:37]
	v_fma_f64 v[62:63], v[62:63], s[14:15], v[38:39]
	v_fma_f64 v[44:45], v[44:45], s[18:19], -v[54:55]
	v_fma_f64 v[46:47], v[46:47], s[18:19], -v[116:117]
	v_fma_f64 v[116:117], v[50:51], s[28:29], v[60:61]
	v_fma_f64 v[60:61], v[48:49], s[28:29], v[66:67]
	v_fma_f64 v[54:55], v[50:51], s[28:29], v[124:125]
	v_fma_f64 v[66:67], v[48:49], s[28:29], v[126:127]
	v_fma_f64 v[124:125], v[50:51], s[28:29], v[40:41]
	v_fma_f64 v[126:127], v[48:49], s[28:29], v[42:43]
	v_add_f64_e32 v[128:129], v[52:53], v[56:57]
	v_add_f64_e32 v[130:131], v[58:59], v[62:63]
	;; [unrolled: 1-line block ×7, first 2 shown]
	v_add_f64_e64 v[42:43], v[130:131], -v[116:117]
	v_add_f64_e32 v[44:45], v[126:127], v[58:59]
	v_add_f64_e64 v[46:47], v[64:65], -v[124:125]
	v_add_f64_e64 v[48:49], v[52:53], -v[66:67]
	v_add_f64_e32 v[50:51], v[54:55], v[56:57]
	v_add_f64_e32 v[52:53], v[66:67], v[52:53]
	v_add_f64_e64 v[54:55], v[56:57], -v[54:55]
	v_add_f64_e64 v[56:57], v[58:59], -v[126:127]
	v_add_f64_e32 v[58:59], v[124:125], v[64:65]
	v_add_f64_e64 v[60:61], v[128:129], -v[60:61]
	v_add_f64_e32 v[62:63], v[116:117], v[130:131]
	ds_store_b128 v236, v[36:39]
	ds_store_b128 v236, v[40:43] offset:352
	ds_store_b128 v236, v[44:47] offset:704
	;; [unrolled: 1-line block ×6, first 2 shown]
	s_and_saveexec_b32 s1, s0
	s_cbranch_execz .LBB0_21
; %bb.20:
	v_mul_f64_e32 v[36:37], v[22:23], v[112:113]
	v_mul_f64_e32 v[38:39], v[6:7], v[32:33]
	;; [unrolled: 1-line block ×12, first 2 shown]
	v_fma_f64 v[36:37], v[20:21], v[114:115], -v[36:37]
	v_fma_f64 v[34:35], v[4:5], v[34:35], -v[38:39]
	;; [unrolled: 1-line block ×4, first 2 shown]
	v_fma_f64 v[4:5], v[4:5], v[32:33], v[6:7]
	v_fma_f64 v[6:7], v[20:21], v[112:113], v[22:23]
	v_fma_f64 v[0:1], v[0:1], v[28:29], v[2:3]
	v_fma_f64 v[2:3], v[8:9], v[108:109], v[10:11]
	v_fma_f64 v[8:9], v[12:13], v[100:101], v[44:45]
	v_fma_f64 v[10:11], v[16:17], v[120:121], v[46:47]
	v_fma_f64 v[16:17], v[16:17], v[122:123], -v[18:19]
	v_fma_f64 v[12:13], v[12:13], v[102:103], -v[14:15]
	v_add_f64_e32 v[14:15], v[34:35], v[36:37]
	v_add_f64_e32 v[18:19], v[30:31], v[38:39]
	;; [unrolled: 1-line block ×3, first 2 shown]
	v_add_f64_e64 v[4:5], v[4:5], -v[6:7]
	v_add_f64_e32 v[22:23], v[0:1], v[2:3]
	v_add_f64_e64 v[0:1], v[0:1], -v[2:3]
	v_add_f64_e64 v[28:29], v[8:9], -v[10:11]
	v_add_f64_e32 v[8:9], v[10:11], v[8:9]
	v_add_f64_e32 v[2:3], v[16:17], v[12:13]
	v_add_f64_e64 v[10:11], v[12:13], -v[16:17]
	v_add_f64_e64 v[12:13], v[30:31], -v[38:39]
	;; [unrolled: 1-line block ×3, first 2 shown]
	v_add_f64_e32 v[6:7], v[18:19], v[14:15]
	v_add_f64_e32 v[30:31], v[22:23], v[20:21]
	v_add_f64_e64 v[38:39], v[0:1], -v[4:5]
	v_add_f64_e64 v[32:33], v[28:29], -v[0:1]
	;; [unrolled: 1-line block ×8, first 2 shown]
	v_add_f64_e32 v[28:29], v[28:29], v[0:1]
	v_add_f64_e32 v[12:13], v[10:11], v[12:13]
	v_add_f64_e64 v[10:11], v[16:17], -v[10:11]
	v_add_f64_e64 v[14:15], v[18:19], -v[14:15]
	;; [unrolled: 1-line block ×3, first 2 shown]
	v_add_f64_e32 v[6:7], v[2:3], v[6:7]
	v_add_f64_e32 v[30:31], v[8:9], v[30:31]
	v_add_f64_e64 v[8:9], v[8:9], -v[22:23]
	v_mul_f64_e32 v[32:33], s[16:17], v[32:33]
	v_mul_f64_e32 v[36:37], s[10:11], v[36:37]
	;; [unrolled: 1-line block ×5, first 2 shown]
	v_add_f64_e32 v[4:5], v[28:29], v[4:5]
	v_add_f64_e32 v[12:13], v[12:13], v[16:17]
	v_add_f64_e32 v[2:3], v[26:27], v[6:7]
	v_mul_f64_e32 v[26:27], s[16:17], v[42:43]
	v_mul_f64_e32 v[42:43], s[2:3], v[44:45]
	v_add_f64_e32 v[0:1], v[24:25], v[30:31]
	v_mul_f64_e32 v[22:23], s[20:21], v[8:9]
	v_fma_f64 v[16:17], v[46:47], s[24:25], v[32:33]
	v_fma_f64 v[8:9], v[8:9], s[20:21], v[36:37]
	;; [unrolled: 1-line block ×3, first 2 shown]
	v_fma_f64 v[28:29], v[46:47], s[26:27], -v[48:49]
	v_fma_f64 v[34:35], v[14:15], s[22:23], -v[34:35]
	;; [unrolled: 1-line block ×5, first 2 shown]
	v_fma_f64 v[6:7], v[6:7], s[14:15], v[2:3]
	v_fma_f64 v[18:19], v[10:11], s[24:25], v[26:27]
	v_fma_f64 v[10:11], v[10:11], s[26:27], -v[42:43]
	v_fma_f64 v[26:27], v[44:45], s[2:3], -v[26:27]
	v_fma_f64 v[30:31], v[30:31], s[14:15], v[0:1]
	v_fma_f64 v[20:21], v[20:21], s[18:19], -v[22:23]
	v_fma_f64 v[16:17], v[4:5], s[28:29], v[16:17]
	v_fma_f64 v[22:23], v[4:5], s[28:29], v[28:29]
	v_fma_f64 v[4:5], v[4:5], s[28:29], v[32:33]
	v_add_f64_e32 v[24:25], v[24:25], v[6:7]
	v_add_f64_e32 v[28:29], v[34:35], v[6:7]
	v_fma_f64 v[34:35], v[12:13], s[28:29], v[18:19]
	v_fma_f64 v[38:39], v[12:13], s[28:29], v[10:11]
	v_add_f64_e32 v[40:41], v[8:9], v[30:31]
	v_add_f64_e32 v[8:9], v[36:37], v[30:31]
	;; [unrolled: 1-line block ×3, first 2 shown]
	v_fma_f64 v[12:13], v[12:13], s[28:29], v[26:27]
	v_add_f64_e32 v[30:31], v[20:21], v[30:31]
	v_add_f64_e32 v[6:7], v[16:17], v[24:25]
	v_add_f64_e64 v[26:27], v[24:25], -v[16:17]
	v_add_f64_e32 v[10:11], v[22:23], v[28:29]
	v_add_f64_e64 v[22:23], v[28:29], -v[22:23]
	v_add_f64_e32 v[24:25], v[34:35], v[40:41]
	v_add_f64_e32 v[20:21], v[38:39], v[8:9]
	;; [unrolled: 1-line block ×3, first 2 shown]
	v_add_f64_e64 v[14:15], v[32:33], -v[4:5]
	v_add_f64_e64 v[16:17], v[30:31], -v[12:13]
	v_add_f64_e32 v[12:13], v[12:13], v[30:31]
	v_add_f64_e64 v[8:9], v[8:9], -v[38:39]
	v_add_f64_e64 v[4:5], v[40:41], -v[34:35]
	v_mad_u16 v28, 0x9a, v229, v230
	s_delay_alu instid0(VALU_DEP_1) | instskip(NEXT) | instid1(VALU_DEP_1)
	v_and_b32_e32 v28, 0xffff, v28
	v_lshlrev_b32_e32 v28, 4, v28
	ds_store_b128 v28, v[0:3]
	ds_store_b128 v28, v[24:27] offset:352
	ds_store_b128 v28, v[20:23] offset:704
	;; [unrolled: 1-line block ×6, first 2 shown]
.LBB0_21:
	s_wait_alu 0xfffe
	s_or_b32 exec_lo, exec_lo, s1
	global_wb scope:SCOPE_SE
	s_wait_dscnt 0x0
	s_barrier_signal -1
	s_barrier_wait -1
	global_inv scope:SCOPE_SE
	ds_load_b128 v[0:3], v227 offset:4928
	ds_load_b128 v[4:7], v227 offset:9856
	;; [unrolled: 1-line block ×8, first 2 shown]
	s_mov_b32 s0, 0x134454ff
	s_mov_b32 s1, 0xbfee6f0e
	;; [unrolled: 1-line block ×3, first 2 shown]
	s_wait_alu 0xfffe
	s_mov_b32 s2, s0
	s_wait_dscnt 0x7
	v_mul_f64_e32 v[38:39], v[70:71], v[0:1]
	s_wait_dscnt 0x6
	v_mul_f64_e32 v[34:35], v[82:83], v[6:7]
	;; [unrolled: 2-line block ×3, first 2 shown]
	v_mul_f64_e32 v[42:43], v[82:83], v[4:5]
	v_mul_f64_e32 v[44:45], v[78:79], v[8:9]
	;; [unrolled: 1-line block ×3, first 2 shown]
	s_wait_dscnt 0x4
	v_mul_f64_e32 v[40:41], v[74:75], v[14:15]
	v_mul_f64_e32 v[46:47], v[74:75], v[12:13]
	s_wait_dscnt 0x2
	v_mul_f64_e32 v[50:51], v[82:83], v[22:23]
	s_wait_dscnt 0x1
	v_mul_f64_e32 v[52:53], v[78:79], v[26:27]
	v_mul_f64_e32 v[54:55], v[82:83], v[20:21]
	;; [unrolled: 1-line block ×4, first 2 shown]
	s_wait_dscnt 0x0
	v_mul_f64_e32 v[56:57], v[74:75], v[30:31]
	v_mul_f64_e32 v[60:61], v[70:71], v[16:17]
	;; [unrolled: 1-line block ×3, first 2 shown]
	v_fma_f64 v[34:35], v[80:81], v[4:5], v[34:35]
	v_fma_f64 v[8:9], v[76:77], v[8:9], v[36:37]
	v_fma_f64 v[36:37], v[68:69], v[2:3], -v[38:39]
	v_fma_f64 v[38:39], v[80:81], v[6:7], -v[42:43]
	;; [unrolled: 1-line block ×3, first 2 shown]
	v_fma_f64 v[32:33], v[68:69], v[0:1], v[32:33]
	v_fma_f64 v[12:13], v[72:73], v[12:13], v[40:41]
	v_fma_f64 v[14:15], v[72:73], v[14:15], -v[46:47]
	v_fma_f64 v[20:21], v[80:81], v[20:21], v[50:51]
	v_fma_f64 v[24:25], v[76:77], v[24:25], v[52:53]
	v_fma_f64 v[22:23], v[80:81], v[22:23], -v[54:55]
	v_fma_f64 v[26:27], v[76:77], v[26:27], -v[58:59]
	v_fma_f64 v[16:17], v[68:69], v[16:17], v[48:49]
	v_fma_f64 v[28:29], v[72:73], v[28:29], v[56:57]
	v_fma_f64 v[18:19], v[68:69], v[18:19], -v[60:61]
	v_fma_f64 v[30:31], v[72:73], v[30:31], -v[62:63]
	ds_load_b128 v[0:3], v227
	ds_load_b128 v[4:7], v227 offset:2464
	global_wb scope:SCOPE_SE
	s_wait_dscnt 0x0
	s_barrier_signal -1
	s_barrier_wait -1
	global_inv scope:SCOPE_SE
	v_add_f64_e32 v[40:41], v[34:35], v[8:9]
	v_add_f64_e32 v[62:63], v[2:3], v[36:37]
	v_add_f64_e64 v[78:79], v[36:37], -v[38:39]
	v_add_f64_e32 v[44:45], v[38:39], v[10:11]
	v_add_f64_e32 v[56:57], v[0:1], v[32:33]
	;; [unrolled: 1-line block ×4, first 2 shown]
	v_add_f64_e64 v[58:59], v[36:37], -v[14:15]
	v_add_f64_e32 v[48:49], v[20:21], v[24:25]
	v_add_f64_e64 v[68:69], v[32:33], -v[12:13]
	v_add_f64_e32 v[52:53], v[22:23], v[26:27]
	v_add_f64_e32 v[64:65], v[4:5], v[16:17]
	;; [unrolled: 1-line block ×3, first 2 shown]
	v_add_f64_e64 v[60:61], v[38:39], -v[10:11]
	v_add_f64_e32 v[54:55], v[18:19], v[30:31]
	v_add_f64_e32 v[66:67], v[6:7], v[18:19]
	v_add_f64_e64 v[70:71], v[18:19], -v[30:31]
	v_add_f64_e64 v[72:73], v[16:17], -v[28:29]
	;; [unrolled: 1-line block ×15, first 2 shown]
	v_fma_f64 v[40:41], v[40:41], -0.5, v[0:1]
	v_add_f64_e32 v[38:39], v[62:63], v[38:39]
	v_fma_f64 v[44:45], v[44:45], -0.5, v[2:3]
	v_fma_f64 v[0:1], v[42:43], -0.5, v[0:1]
	v_add_f64_e64 v[42:43], v[34:35], -v[8:9]
	v_fma_f64 v[2:3], v[46:47], -0.5, v[2:3]
	v_fma_f64 v[48:49], v[48:49], -0.5, v[4:5]
	v_add_f64_e64 v[46:47], v[22:23], -v[26:27]
	;; [unrolled: 3-line block ×3, first 2 shown]
	v_fma_f64 v[6:7], v[54:55], -0.5, v[6:7]
	v_add_f64_e64 v[54:55], v[32:33], -v[34:35]
	v_add_f64_e64 v[32:33], v[34:35], -v[32:33]
	v_add_f64_e32 v[34:35], v[56:57], v[34:35]
	v_add_f64_e32 v[20:21], v[64:65], v[20:21]
	;; [unrolled: 1-line block ×5, first 2 shown]
	v_fma_f64 v[56:57], v[58:59], s[0:1], v[40:41]
	s_wait_alu 0xfffe
	v_fma_f64 v[40:41], v[58:59], s[2:3], v[40:41]
	v_add_f64_e32 v[10:11], v[38:39], v[10:11]
	v_fma_f64 v[64:65], v[68:69], s[2:3], v[44:45]
	v_fma_f64 v[44:45], v[68:69], s[0:1], v[44:45]
	;; [unrolled: 1-line block ×14, first 2 shown]
	s_mov_b32 s0, 0x4755a5e
	s_mov_b32 s1, 0xbfe2cf23
	;; [unrolled: 1-line block ×3, first 2 shown]
	s_wait_alu 0xfffe
	s_mov_b32 s2, s0
	v_add_f64_e32 v[8:9], v[34:35], v[8:9]
	v_add_f64_e32 v[54:55], v[54:55], v[74:75]
	;; [unrolled: 1-line block ×9, first 2 shown]
	v_fma_f64 v[20:21], v[60:61], s[0:1], v[56:57]
	s_wait_alu 0xfffe
	v_fma_f64 v[22:23], v[60:61], s[2:3], v[40:41]
	v_fma_f64 v[34:35], v[42:43], s[2:3], v[64:65]
	v_fma_f64 v[38:39], v[42:43], s[0:1], v[44:45]
	v_fma_f64 v[24:25], v[58:59], s[0:1], v[62:63]
	v_fma_f64 v[26:27], v[58:59], s[2:3], v[0:1]
	v_fma_f64 v[40:41], v[68:69], s[2:3], v[66:67]
	v_fma_f64 v[42:43], v[68:69], s[0:1], v[2:3]
	v_fma_f64 v[44:45], v[46:47], s[0:1], v[116:117]
	v_fma_f64 v[58:59], v[50:51], s[2:3], v[120:121]
	v_fma_f64 v[46:47], v[46:47], s[2:3], v[48:49]
	v_fma_f64 v[48:49], v[70:71], s[0:1], v[118:119]
	v_fma_f64 v[56:57], v[70:71], s[2:3], v[4:5]
	v_fma_f64 v[60:61], v[72:73], s[2:3], v[122:123]
	v_fma_f64 v[62:63], v[72:73], s[0:1], v[6:7]
	v_fma_f64 v[50:51], v[50:51], s[0:1], v[52:53]
	s_mov_b32 s0, 0x372fe950
	s_mov_b32 s1, 0x3fd3c6ef
	v_add_f64_e32 v[2:3], v[10:11], v[14:15]
	v_add_f64_e32 v[0:1], v[8:9], v[12:13]
	;; [unrolled: 1-line block ×4, first 2 shown]
	s_wait_alu 0xfffe
	v_fma_f64 v[8:9], v[54:55], s[0:1], v[20:21]
	v_fma_f64 v[12:13], v[54:55], s[0:1], v[22:23]
	;; [unrolled: 1-line block ×16, first 2 shown]
	ds_store_b128 v227, v[0:3]
	ds_store_b128 v227, v[8:11] offset:2464
	ds_store_b128 v227, v[16:19] offset:4928
	;; [unrolled: 1-line block ×9, first 2 shown]
	global_wb scope:SCOPE_SE
	s_wait_dscnt 0x0
	s_barrier_signal -1
	s_barrier_wait -1
	global_inv scope:SCOPE_SE
	ds_load_b128 v[0:3], v227 offset:12320
	ds_load_b128 v[4:7], v227 offset:14784
	;; [unrolled: 1-line block ×6, first 2 shown]
	s_wait_dscnt 0x5
	v_mul_f64_e32 v[24:25], v[86:87], v[2:3]
	v_mul_f64_e32 v[26:27], v[86:87], v[0:1]
	s_wait_dscnt 0x4
	v_mul_f64_e32 v[28:29], v[90:91], v[6:7]
	v_mul_f64_e32 v[30:31], v[90:91], v[4:5]
	;; [unrolled: 3-line block ×5, first 2 shown]
	v_fma_f64 v[24:25], v[84:85], v[0:1], v[24:25]
	v_fma_f64 v[26:27], v[84:85], v[2:3], -v[26:27]
	v_fma_f64 v[28:29], v[88:89], v[4:5], v[28:29]
	v_fma_f64 v[30:31], v[88:89], v[6:7], -v[30:31]
	;; [unrolled: 2-line block ×5, first 2 shown]
	ds_load_b128 v[0:3], v227
	ds_load_b128 v[4:7], v227 offset:2464
	ds_load_b128 v[8:11], v227 offset:4928
	;; [unrolled: 1-line block ×3, first 2 shown]
	s_wait_dscnt 0x3
	v_add_f64_e64 v[16:17], v[0:1], -v[24:25]
	v_add_f64_e64 v[18:19], v[2:3], -v[26:27]
	s_wait_dscnt 0x2
	v_add_f64_e64 v[24:25], v[4:5], -v[28:29]
	v_add_f64_e64 v[26:27], v[6:7], -v[30:31]
	;; [unrolled: 3-line block ×4, first 2 shown]
	v_add_f64_e64 v[36:37], v[20:21], -v[40:41]
	v_add_f64_e64 v[38:39], v[22:23], -v[42:43]
	v_fma_f64 v[0:1], v[0:1], 2.0, -v[16:17]
	v_fma_f64 v[2:3], v[2:3], 2.0, -v[18:19]
	;; [unrolled: 1-line block ×10, first 2 shown]
	ds_store_b128 v227, v[24:27] offset:14784
	ds_store_b128 v227, v[28:31] offset:17248
	;; [unrolled: 1-line block ×4, first 2 shown]
	ds_store_b128 v227, v[0:3]
	ds_store_b128 v227, v[4:7] offset:2464
	ds_store_b128 v227, v[8:11] offset:4928
	;; [unrolled: 1-line block ×5, first 2 shown]
	global_wb scope:SCOPE_SE
	s_wait_dscnt 0x0
	s_barrier_signal -1
	s_barrier_wait -1
	global_inv scope:SCOPE_SE
	s_and_b32 exec_lo, exec_lo, vcc_lo
	s_cbranch_execz .LBB0_23
; %bb.22:
	s_clause 0xa
	global_load_b128 v[0:3], v225, s[12:13]
	global_load_b128 v[4:7], v225, s[12:13] offset:2240
	global_load_b128 v[8:11], v225, s[12:13] offset:4480
	;; [unrolled: 1-line block ×10, first 2 shown]
	v_mad_co_u64_u32 v[88:89], null, s6, v164, 0
	v_mad_co_u64_u32 v[90:91], null, s4, v226, 0
	ds_load_b128 v[44:47], v227
	ds_load_b128 v[48:51], v225 offset:2240
	ds_load_b128 v[52:55], v225 offset:4480
	;; [unrolled: 1-line block ×3, first 2 shown]
	s_mul_u64 s[0:1], s[4:5], 0x8c0
	s_mov_b32 s2, 0xe6bb82fe
	v_mov_b32_e32 v60, v89
	s_mov_b32 s3, 0x3f454725
	v_mov_b32_e32 v68, v91
	s_delay_alu instid0(VALU_DEP_2)
	v_mad_co_u64_u32 v[76:77], null, s7, v164, v[60:61]
	ds_load_b128 v[60:63], v225 offset:8960
	ds_load_b128 v[64:67], v225 offset:11200
	v_mad_co_u64_u32 v[91:92], null, s5, v226, v[68:69]
	ds_load_b128 v[68:71], v225 offset:13440
	ds_load_b128 v[72:75], v225 offset:15680
	v_mov_b32_e32 v89, v76
	ds_load_b128 v[76:79], v225 offset:17920
	ds_load_b128 v[80:83], v225 offset:20160
	;; [unrolled: 1-line block ×3, first 2 shown]
	v_lshlrev_b64_e32 v[90:91], 4, v[90:91]
	v_lshlrev_b64_e32 v[88:89], 4, v[88:89]
	s_delay_alu instid0(VALU_DEP_1) | instskip(NEXT) | instid1(VALU_DEP_2)
	v_add_co_u32 v88, vcc_lo, s8, v88
	v_add_co_ci_u32_e32 v89, vcc_lo, s9, v89, vcc_lo
	s_delay_alu instid0(VALU_DEP_2) | instskip(SKIP_1) | instid1(VALU_DEP_2)
	v_add_co_u32 v88, vcc_lo, v88, v90
	s_wait_alu 0xfffd
	v_add_co_ci_u32_e32 v89, vcc_lo, v89, v91, vcc_lo
	s_wait_alu 0xfffe
	s_delay_alu instid0(VALU_DEP_2) | instskip(SKIP_1) | instid1(VALU_DEP_2)
	v_add_co_u32 v90, vcc_lo, v88, s0
	s_wait_alu 0xfffd
	v_add_co_ci_u32_e32 v91, vcc_lo, s1, v89, vcc_lo
	s_wait_loadcnt_dscnt 0xa0a
	v_mul_f64_e32 v[92:93], v[46:47], v[2:3]
	v_mul_f64_e32 v[2:3], v[44:45], v[2:3]
	s_wait_loadcnt_dscnt 0x909
	v_mul_f64_e32 v[94:95], v[50:51], v[6:7]
	v_mul_f64_e32 v[6:7], v[48:49], v[6:7]
	;; [unrolled: 3-line block ×11, first 2 shown]
	v_fma_f64 v[44:45], v[44:45], v[0:1], v[92:93]
	v_fma_f64 v[2:3], v[0:1], v[46:47], -v[2:3]
	v_fma_f64 v[46:47], v[48:49], v[4:5], v[94:95]
	v_fma_f64 v[6:7], v[4:5], v[50:51], -v[6:7]
	;; [unrolled: 2-line block ×11, first 2 shown]
	v_add_co_u32 v66, vcc_lo, v90, s0
	s_wait_alu 0xfffd
	v_add_co_ci_u32_e32 v67, vcc_lo, s1, v91, vcc_lo
	s_delay_alu instid0(VALU_DEP_2) | instskip(SKIP_1) | instid1(VALU_DEP_2)
	v_add_co_u32 v68, vcc_lo, v66, s0
	s_wait_alu 0xfffd
	v_add_co_ci_u32_e32 v69, vcc_lo, s1, v67, vcc_lo
	s_delay_alu instid0(VALU_DEP_2) | instskip(SKIP_1) | instid1(VALU_DEP_2)
	v_add_co_u32 v70, vcc_lo, v68, s0
	s_wait_alu 0xfffd
	v_add_co_ci_u32_e32 v71, vcc_lo, s1, v69, vcc_lo
	v_mul_f64_e32 v[0:1], s[2:3], v[44:45]
	v_mul_f64_e32 v[2:3], s[2:3], v[2:3]
	;; [unrolled: 1-line block ×22, first 2 shown]
	v_add_co_u32 v44, vcc_lo, v70, s0
	s_wait_alu 0xfffd
	v_add_co_ci_u32_e32 v45, vcc_lo, s1, v71, vcc_lo
	s_delay_alu instid0(VALU_DEP_2) | instskip(SKIP_1) | instid1(VALU_DEP_2)
	v_add_co_u32 v46, vcc_lo, v44, s0
	s_wait_alu 0xfffd
	v_add_co_ci_u32_e32 v47, vcc_lo, s1, v45, vcc_lo
	s_delay_alu instid0(VALU_DEP_2) | instskip(SKIP_1) | instid1(VALU_DEP_2)
	;; [unrolled: 4-line block ×5, first 2 shown]
	v_add_co_u32 v54, vcc_lo, v52, s0
	s_wait_alu 0xfffd
	v_add_co_ci_u32_e32 v55, vcc_lo, s1, v53, vcc_lo
	s_clause 0x4
	global_store_b128 v[88:89], v[0:3], off
	global_store_b128 v[90:91], v[4:7], off
	;; [unrolled: 1-line block ×11, first 2 shown]
.LBB0_23:
	s_nop 0
	s_sendmsg sendmsg(MSG_DEALLOC_VGPRS)
	s_endpgm
	.section	.rodata,"a",@progbits
	.p2align	6, 0x0
	.amdhsa_kernel bluestein_single_back_len1540_dim1_dp_op_CI_CI
		.amdhsa_group_segment_fixed_size 24640
		.amdhsa_private_segment_fixed_size 0
		.amdhsa_kernarg_size 104
		.amdhsa_user_sgpr_count 2
		.amdhsa_user_sgpr_dispatch_ptr 0
		.amdhsa_user_sgpr_queue_ptr 0
		.amdhsa_user_sgpr_kernarg_segment_ptr 1
		.amdhsa_user_sgpr_dispatch_id 0
		.amdhsa_user_sgpr_private_segment_size 0
		.amdhsa_wavefront_size32 1
		.amdhsa_uses_dynamic_stack 0
		.amdhsa_enable_private_segment 0
		.amdhsa_system_sgpr_workgroup_id_x 1
		.amdhsa_system_sgpr_workgroup_id_y 0
		.amdhsa_system_sgpr_workgroup_id_z 0
		.amdhsa_system_sgpr_workgroup_info 0
		.amdhsa_system_vgpr_workitem_id 0
		.amdhsa_next_free_vgpr 247
		.amdhsa_next_free_sgpr 40
		.amdhsa_reserve_vcc 1
		.amdhsa_float_round_mode_32 0
		.amdhsa_float_round_mode_16_64 0
		.amdhsa_float_denorm_mode_32 3
		.amdhsa_float_denorm_mode_16_64 3
		.amdhsa_fp16_overflow 0
		.amdhsa_workgroup_processor_mode 1
		.amdhsa_memory_ordered 1
		.amdhsa_forward_progress 0
		.amdhsa_round_robin_scheduling 0
		.amdhsa_exception_fp_ieee_invalid_op 0
		.amdhsa_exception_fp_denorm_src 0
		.amdhsa_exception_fp_ieee_div_zero 0
		.amdhsa_exception_fp_ieee_overflow 0
		.amdhsa_exception_fp_ieee_underflow 0
		.amdhsa_exception_fp_ieee_inexact 0
		.amdhsa_exception_int_div_zero 0
	.end_amdhsa_kernel
	.text
.Lfunc_end0:
	.size	bluestein_single_back_len1540_dim1_dp_op_CI_CI, .Lfunc_end0-bluestein_single_back_len1540_dim1_dp_op_CI_CI
                                        ; -- End function
	.section	.AMDGPU.csdata,"",@progbits
; Kernel info:
; codeLenInByte = 16876
; NumSgprs: 42
; NumVgprs: 247
; ScratchSize: 0
; MemoryBound: 0
; FloatMode: 240
; IeeeMode: 1
; LDSByteSize: 24640 bytes/workgroup (compile time only)
; SGPRBlocks: 5
; VGPRBlocks: 30
; NumSGPRsForWavesPerEU: 42
; NumVGPRsForWavesPerEU: 247
; Occupancy: 5
; WaveLimiterHint : 1
; COMPUTE_PGM_RSRC2:SCRATCH_EN: 0
; COMPUTE_PGM_RSRC2:USER_SGPR: 2
; COMPUTE_PGM_RSRC2:TRAP_HANDLER: 0
; COMPUTE_PGM_RSRC2:TGID_X_EN: 1
; COMPUTE_PGM_RSRC2:TGID_Y_EN: 0
; COMPUTE_PGM_RSRC2:TGID_Z_EN: 0
; COMPUTE_PGM_RSRC2:TIDIG_COMP_CNT: 0
	.text
	.p2alignl 7, 3214868480
	.fill 96, 4, 3214868480
	.type	__hip_cuid_69205149c606cea5,@object ; @__hip_cuid_69205149c606cea5
	.section	.bss,"aw",@nobits
	.globl	__hip_cuid_69205149c606cea5
__hip_cuid_69205149c606cea5:
	.byte	0                               ; 0x0
	.size	__hip_cuid_69205149c606cea5, 1

	.ident	"AMD clang version 19.0.0git (https://github.com/RadeonOpenCompute/llvm-project roc-6.4.0 25133 c7fe45cf4b819c5991fe208aaa96edf142730f1d)"
	.section	".note.GNU-stack","",@progbits
	.addrsig
	.addrsig_sym __hip_cuid_69205149c606cea5
	.amdgpu_metadata
---
amdhsa.kernels:
  - .args:
      - .actual_access:  read_only
        .address_space:  global
        .offset:         0
        .size:           8
        .value_kind:     global_buffer
      - .actual_access:  read_only
        .address_space:  global
        .offset:         8
        .size:           8
        .value_kind:     global_buffer
      - .actual_access:  read_only
        .address_space:  global
        .offset:         16
        .size:           8
        .value_kind:     global_buffer
      - .actual_access:  read_only
        .address_space:  global
        .offset:         24
        .size:           8
        .value_kind:     global_buffer
      - .actual_access:  read_only
        .address_space:  global
        .offset:         32
        .size:           8
        .value_kind:     global_buffer
      - .offset:         40
        .size:           8
        .value_kind:     by_value
      - .address_space:  global
        .offset:         48
        .size:           8
        .value_kind:     global_buffer
      - .address_space:  global
        .offset:         56
        .size:           8
        .value_kind:     global_buffer
      - .address_space:  global
        .offset:         64
        .size:           8
        .value_kind:     global_buffer
      - .address_space:  global
        .offset:         72
        .size:           8
        .value_kind:     global_buffer
      - .offset:         80
        .size:           4
        .value_kind:     by_value
      - .address_space:  global
        .offset:         88
        .size:           8
        .value_kind:     global_buffer
      - .address_space:  global
        .offset:         96
        .size:           8
        .value_kind:     global_buffer
    .group_segment_fixed_size: 24640
    .kernarg_segment_align: 8
    .kernarg_segment_size: 104
    .language:       OpenCL C
    .language_version:
      - 2
      - 0
    .max_flat_workgroup_size: 154
    .name:           bluestein_single_back_len1540_dim1_dp_op_CI_CI
    .private_segment_fixed_size: 0
    .sgpr_count:     42
    .sgpr_spill_count: 0
    .symbol:         bluestein_single_back_len1540_dim1_dp_op_CI_CI.kd
    .uniform_work_group_size: 1
    .uses_dynamic_stack: false
    .vgpr_count:     247
    .vgpr_spill_count: 0
    .wavefront_size: 32
    .workgroup_processor_mode: 1
amdhsa.target:   amdgcn-amd-amdhsa--gfx1201
amdhsa.version:
  - 1
  - 2
...

	.end_amdgpu_metadata
